;; amdgpu-corpus repo=ROCm/rocFFT kind=compiled arch=gfx906 opt=O3
	.text
	.amdgcn_target "amdgcn-amd-amdhsa--gfx906"
	.amdhsa_code_object_version 6
	.protected	bluestein_single_back_len1701_dim1_half_op_CI_CI ; -- Begin function bluestein_single_back_len1701_dim1_half_op_CI_CI
	.globl	bluestein_single_back_len1701_dim1_half_op_CI_CI
	.p2align	8
	.type	bluestein_single_back_len1701_dim1_half_op_CI_CI,@function
bluestein_single_back_len1701_dim1_half_op_CI_CI: ; @bluestein_single_back_len1701_dim1_half_op_CI_CI
; %bb.0:
	s_load_dwordx4 s[16:19], s[4:5], 0x28
	v_mul_u32_u24_e32 v1, 0x411, v0
	v_add_u32_sdwa v16, s6, v1 dst_sel:DWORD dst_unused:UNUSED_PAD src0_sel:DWORD src1_sel:WORD_1
	v_mov_b32_e32 v17, 0
	s_waitcnt lgkmcnt(0)
	v_cmp_gt_u64_e32 vcc, s[16:17], v[16:17]
	s_and_saveexec_b64 s[0:1], vcc
	s_cbranch_execz .LBB0_10
; %bb.1:
	s_load_dwordx4 s[8:11], s[4:5], 0x18
	s_load_dwordx4 s[12:15], s[4:5], 0x0
	v_mov_b32_e32 v2, 63
	v_mul_lo_u16_sdwa v1, v1, v2 dst_sel:DWORD dst_unused:UNUSED_PAD src0_sel:WORD_1 src1_sel:DWORD
	v_sub_u16_e32 v149, v0, v1
	s_waitcnt lgkmcnt(0)
	s_load_dwordx4 s[0:3], s[8:9], 0x0
	v_lshlrev_b32_e32 v123, 2, v149
	global_load_dword v150, v123, s[12:13]
	v_add_u32_e32 v74, 0x800, v123
	v_add_u32_e32 v91, 0x1000, v123
	s_waitcnt lgkmcnt(0)
	v_mad_u64_u32 v[0:1], s[6:7], s2, v16, 0
	v_mad_u64_u32 v[2:3], s[6:7], s0, v149, 0
	s_mul_i32 s6, s0, 0x8dc
	s_mul_hi_u32 s16, s0, 0xffffef44
	v_mad_u64_u32 v[4:5], s[2:3], s3, v16, v[1:2]
	s_mul_i32 s7, s1, 0xffffef44
	v_add_u32_e32 v97, 0xa00, v123
	v_mad_u64_u32 v[5:6], s[2:3], s1, v149, v[3:4]
	v_mov_b32_e32 v1, v4
	v_lshlrev_b64 v[0:1], 2, v[0:1]
	v_mov_b32_e32 v6, s19
	v_mov_b32_e32 v3, v5
	v_add_co_u32_e32 v4, vcc, s18, v0
	v_addc_co_u32_e32 v5, vcc, v6, v1, vcc
	v_lshlrev_b64 v[0:1], 2, v[2:3]
	s_mul_i32 s2, s1, 0x8dc
	v_add_co_u32_e32 v0, vcc, v4, v0
	s_mul_hi_u32 s3, s0, 0x8dc
	v_addc_co_u32_e32 v1, vcc, v5, v1, vcc
	s_add_i32 s3, s3, s2
	global_load_dword v4, v[0:1], off
	v_mov_b32_e32 v2, s3
	v_add_co_u32_e32 v0, vcc, s6, v0
	v_addc_co_u32_e32 v1, vcc, v1, v2, vcc
	global_load_dword v5, v[0:1], off
	global_load_dword v148, v123, s[12:13] offset:2268
	v_mov_b32_e32 v3, s3
	v_add_co_u32_e32 v2, vcc, s6, v0
	v_addc_co_u32_e32 v3, vcc, v1, v3, vcc
	v_mov_b32_e32 v0, s13
	v_add_co_u32_e32 v1, vcc, s12, v123
	s_movk_i32 s2, 0x1000
	v_addc_co_u32_e32 v7, vcc, 0, v0, vcc
	v_add_co_u32_e32 v0, vcc, s2, v1
	global_load_dword v6, v[2:3], off
	v_addc_co_u32_e32 v1, vcc, 0, v7, vcc
	global_load_dword v146, v[0:1], off offset:440
	s_mul_i32 s1, s0, 0xffffef44
	s_sub_i32 s0, s16, s0
	s_add_i32 s0, s0, s7
	v_mov_b32_e32 v7, s0
	v_add_co_u32_e32 v2, vcc, s1, v2
	v_addc_co_u32_e32 v3, vcc, v3, v7, vcc
	s_load_dwordx4 s[8:11], s[10:11], 0x0
	global_load_dword v144, v123, s[12:13] offset:2520
	global_load_dword v141, v123, s[12:13] offset:2772
	;; [unrolled: 1-line block ×6, first 2 shown]
	global_load_dword v7, v[2:3], off
	global_load_dword v151, v123, s[12:13] offset:252
	global_load_dword v145, v123, s[12:13] offset:504
	;; [unrolled: 1-line block ×8, first 2 shown]
	v_mov_b32_e32 v8, s3
	v_add_co_u32_e32 v2, vcc, s6, v2
	v_addc_co_u32_e32 v3, vcc, v3, v8, vcc
	global_load_dword v8, v[2:3], off
	v_mov_b32_e32 v9, s3
	v_add_co_u32_e32 v2, vcc, s6, v2
	v_addc_co_u32_e32 v3, vcc, v3, v9, vcc
	v_mov_b32_e32 v9, s0
	v_mov_b32_e32 v14, s3
	;; [unrolled: 1-line block ×4, first 2 shown]
	s_movk_i32 s7, 0x7e
	v_add_u32_e32 v92, 0x1400, v123
	v_add_u32_e32 v98, 0x200, v123
	;; [unrolled: 1-line block ×5, first 2 shown]
	s_mov_b32 s2, 0xffff
	v_add_u32_e32 v94, 0x1200, v123
	v_add_u32_e32 v96, 0x600, v123
	;; [unrolled: 1-line block ×3, first 2 shown]
                                        ; implicit-def: $vgpr204
                                        ; implicit-def: $vgpr205
	s_waitcnt vmcnt(20)
	v_lshrrev_b32_e32 v10, 16, v4
	v_mul_f16_sdwa v11, v150, v4 dst_sel:DWORD dst_unused:UNUSED_PAD src0_sel:WORD_1 src1_sel:DWORD
	v_mul_f16_sdwa v12, v150, v10 dst_sel:DWORD dst_unused:UNUSED_PAD src0_sel:WORD_1 src1_sel:DWORD
	v_fma_f16 v10, v150, v10, -v11
	v_fma_f16 v4, v150, v4, v12
	s_waitcnt vmcnt(19)
	v_lshrrev_b32_e32 v11, 16, v5
	s_waitcnt vmcnt(18)
	v_mul_f16_sdwa v13, v148, v5 dst_sel:DWORD dst_unused:UNUSED_PAD src0_sel:WORD_1 src1_sel:DWORD
	v_mul_f16_sdwa v12, v148, v11 dst_sel:DWORD dst_unused:UNUSED_PAD src0_sel:WORD_1 src1_sel:DWORD
	v_fma_f16 v11, v148, v11, -v13
	v_fma_f16 v5, v148, v5, v12
	v_pack_b32_f16 v5, v5, v11
	ds_write_b32 v123, v5 offset:2268
	global_load_dword v5, v[2:3], off
	global_load_dword v147, v[0:1], off offset:692
	v_add_co_u32_e32 v2, vcc, s1, v2
	v_addc_co_u32_e32 v3, vcc, v3, v9, vcc
	global_load_dword v9, v[2:3], off
	v_pack_b32_f16 v4, v4, v10
	v_mov_b32_e32 v10, s3
	v_add_co_u32_e32 v2, vcc, s6, v2
	v_addc_co_u32_e32 v3, vcc, v3, v10, vcc
	s_waitcnt vmcnt(20)
	v_lshrrev_b32_e32 v13, 16, v6
	global_load_dword v10, v[2:3], off
	global_load_dword v143, v[0:1], off offset:944
	global_load_dword v140, v[0:1], off offset:1196
	;; [unrolled: 1-line block ×5, first 2 shown]
	v_mov_b32_e32 v11, s3
	v_add_co_u32_e32 v2, vcc, s6, v2
	v_addc_co_u32_e32 v3, vcc, v3, v11, vcc
	s_waitcnt vmcnt(25)
	v_mul_f16_sdwa v12, v146, v13 dst_sel:DWORD dst_unused:UNUSED_PAD src0_sel:WORD_1 src1_sel:DWORD
	global_load_dword v11, v[2:3], off
	global_load_dword v124, v[0:1], off offset:188
	v_fma_f16 v12, v146, v6, v12
	v_mul_f16_sdwa v6, v146, v6 dst_sel:DWORD dst_unused:UNUSED_PAD src0_sel:WORD_1 src1_sel:DWORD
	v_fma_f16 v6, v146, v13, -v6
	v_mov_b32_e32 v13, s0
	v_add_co_u32_e32 v2, vcc, s1, v2
	v_addc_co_u32_e32 v3, vcc, v3, v13, vcc
	global_load_dword v13, v[2:3], off
	v_pack_b32_f16 v6, v12, v6
	v_mov_b32_e32 v12, s3
	v_add_co_u32_e32 v2, vcc, s6, v2
	v_addc_co_u32_e32 v3, vcc, v3, v12, vcc
	global_load_dword v12, v[2:3], off
	v_add_co_u32_e32 v2, vcc, s6, v2
	v_addc_co_u32_e32 v3, vcc, v3, v14, vcc
	global_load_dword v14, v[2:3], off
	;; [unrolled: 3-line block ×4, first 2 shown]
	ds_write_b32 v123, v6 offset:4536
	s_waitcnt vmcnt(25)
	v_lshrrev_b32_e32 v6, 16, v7
	s_waitcnt vmcnt(24)
	v_mul_f16_sdwa v15, v151, v6 dst_sel:DWORD dst_unused:UNUSED_PAD src0_sel:WORD_1 src1_sel:DWORD
	v_fma_f16 v15, v151, v7, v15
	v_mul_f16_sdwa v7, v151, v7 dst_sel:DWORD dst_unused:UNUSED_PAD src0_sel:WORD_1 src1_sel:DWORD
	v_fma_f16 v6, v151, v6, -v7
	v_mov_b32_e32 v7, s3
	v_add_co_u32_e32 v2, vcc, s6, v2
	v_addc_co_u32_e32 v3, vcc, v3, v7, vcc
	global_load_dword v7, v[2:3], off
	v_pack_b32_f16 v6, v15, v6
	ds_write2_b32 v123, v4, v6 offset1:63
	s_waitcnt vmcnt(17)
	v_lshrrev_b32_e32 v4, 16, v8
	v_mul_f16_sdwa v6, v144, v4 dst_sel:DWORD dst_unused:UNUSED_PAD src0_sel:WORD_1 src1_sel:DWORD
	v_fma_f16 v6, v144, v8, v6
	v_mul_f16_sdwa v8, v144, v8 dst_sel:DWORD dst_unused:UNUSED_PAD src0_sel:WORD_1 src1_sel:DWORD
	v_fma_f16 v4, v144, v4, -v8
	v_pack_b32_f16 v4, v6, v4
	v_add_co_u32_e32 v75, vcc, s7, v149
	s_movk_i32 s7, 0xbd
	v_add_co_u32_e32 v73, vcc, s7, v149
	s_movk_i32 s7, 0xfc
	v_add_co_u32_e32 v76, vcc, s7, v149
	s_waitcnt vmcnt(16)
	v_lshrrev_b32_e32 v6, 16, v5
	s_waitcnt vmcnt(15)
	v_mul_f16_sdwa v8, v147, v6 dst_sel:DWORD dst_unused:UNUSED_PAD src0_sel:WORD_1 src1_sel:DWORD
	v_fma_f16 v8, v147, v5, v8
	v_mul_f16_sdwa v5, v147, v5 dst_sel:DWORD dst_unused:UNUSED_PAD src0_sel:WORD_1 src1_sel:DWORD
	v_fma_f16 v5, v147, v6, -v5
	s_waitcnt vmcnt(14)
	v_lshrrev_b32_e32 v6, 16, v9
	v_pack_b32_f16 v5, v8, v5
	v_mul_f16_sdwa v8, v145, v6 dst_sel:DWORD dst_unused:UNUSED_PAD src0_sel:WORD_1 src1_sel:DWORD
	v_fma_f16 v8, v145, v9, v8
	v_mul_f16_sdwa v9, v145, v9 dst_sel:DWORD dst_unused:UNUSED_PAD src0_sel:WORD_1 src1_sel:DWORD
	v_fma_f16 v6, v145, v6, -v9
	v_pack_b32_f16 v6, v8, v6
	s_waitcnt vmcnt(13)
	v_lshrrev_b32_e32 v8, 16, v10
	v_mul_f16_sdwa v9, v141, v8 dst_sel:DWORD dst_unused:UNUSED_PAD src0_sel:WORD_1 src1_sel:DWORD
	v_fma_f16 v9, v141, v10, v9
	v_mul_f16_sdwa v10, v141, v10 dst_sel:DWORD dst_unused:UNUSED_PAD src0_sel:WORD_1 src1_sel:DWORD
	v_fma_f16 v8, v141, v8, -v10
	v_pack_b32_f16 v8, v9, v8
	ds_write2_b32 v74, v4, v8 offset0:118 offset1:181
	s_waitcnt vmcnt(7)
	v_lshrrev_b32_e32 v4, 16, v11
	v_mul_f16_sdwa v8, v143, v4 dst_sel:DWORD dst_unused:UNUSED_PAD src0_sel:WORD_1 src1_sel:DWORD
	v_mul_f16_sdwa v9, v143, v11 dst_sel:DWORD dst_unused:UNUSED_PAD src0_sel:WORD_1 src1_sel:DWORD
	v_fma_f16 v8, v143, v11, v8
	v_fma_f16 v4, v143, v4, -v9
	v_pack_b32_f16 v4, v8, v4
	ds_write2_b32 v91, v5, v4 offset0:173 offset1:236
	v_mov_b32_e32 v10, s0
	v_add_co_u32_e32 v2, vcc, s1, v2
	s_waitcnt vmcnt(5)
	v_lshrrev_b32_e32 v4, 16, v13
	v_mul_f16_sdwa v5, v142, v4 dst_sel:DWORD dst_unused:UNUSED_PAD src0_sel:WORD_1 src1_sel:DWORD
	v_mul_f16_sdwa v8, v142, v13 dst_sel:DWORD dst_unused:UNUSED_PAD src0_sel:WORD_1 src1_sel:DWORD
	v_fma_f16 v5, v142, v13, v5
	v_fma_f16 v4, v142, v4, -v8
	v_pack_b32_f16 v4, v5, v4
	ds_write2_b32 v123, v6, v4 offset0:126 offset1:189
	s_waitcnt vmcnt(4)
	v_lshrrev_b32_e32 v4, 16, v12
	v_mul_f16_sdwa v5, v139, v4 dst_sel:DWORD dst_unused:UNUSED_PAD src0_sel:WORD_1 src1_sel:DWORD
	v_mul_f16_sdwa v6, v139, v12 dst_sel:DWORD dst_unused:UNUSED_PAD src0_sel:WORD_1 src1_sel:DWORD
	v_fma_f16 v5, v139, v12, v5
	v_fma_f16 v4, v139, v4, -v6
	v_pack_b32_f16 v4, v5, v4
	s_waitcnt vmcnt(3)
	v_lshrrev_b32_e32 v5, 16, v14
	v_mul_f16_sdwa v6, v140, v5 dst_sel:DWORD dst_unused:UNUSED_PAD src0_sel:WORD_1 src1_sel:DWORD
	v_mul_f16_sdwa v8, v140, v14 dst_sel:DWORD dst_unused:UNUSED_PAD src0_sel:WORD_1 src1_sel:DWORD
	v_fma_f16 v6, v140, v14, v6
	v_fma_f16 v5, v140, v5, -v8
	v_pack_b32_f16 v5, v6, v5
	;; [unrolled: 7-line block ×3, first 2 shown]
	s_waitcnt vmcnt(1)
	v_lshrrev_b32_e32 v8, 16, v18
	v_addc_co_u32_e32 v3, vcc, v3, v10, vcc
	v_mul_f16_sdwa v9, v136, v8 dst_sel:DWORD dst_unused:UNUSED_PAD src0_sel:WORD_1 src1_sel:DWORD
	global_load_dword v10, v[2:3], off
	v_mul_f16_sdwa v11, v136, v18 dst_sel:DWORD dst_unused:UNUSED_PAD src0_sel:WORD_1 src1_sel:DWORD
	v_fma_f16 v9, v136, v18, v9
	v_fma_f16 v8, v136, v8, -v11
	v_pack_b32_f16 v8, v9, v8
	v_mov_b32_e32 v9, s3
	v_add_co_u32_e32 v2, vcc, s6, v2
	v_addc_co_u32_e32 v3, vcc, v3, v9, vcc
	global_load_dword v9, v[2:3], off
	ds_write2_b32 v97, v4, v8 offset0:116 offset1:179
	s_waitcnt vmcnt(2)
	v_lshrrev_b32_e32 v4, 16, v7
	v_mov_b32_e32 v11, s3
	v_add_co_u32_e32 v2, vcc, s6, v2
	v_mul_f16_sdwa v8, v137, v4 dst_sel:DWORD dst_unused:UNUSED_PAD src0_sel:WORD_1 src1_sel:DWORD
	v_addc_co_u32_e32 v3, vcc, v3, v11, vcc
	v_fma_f16 v8, v137, v7, v8
	global_load_dword v11, v[2:3], off
	v_mul_f16_sdwa v7, v137, v7 dst_sel:DWORD dst_unused:UNUSED_PAD src0_sel:WORD_1 src1_sel:DWORD
	v_fma_f16 v4, v137, v4, -v7
	v_mov_b32_e32 v7, s0
	v_add_co_u32_e32 v2, vcc, s1, v2
	v_addc_co_u32_e32 v3, vcc, v3, v7, vcc
	global_load_dword v7, v[2:3], off
	v_pack_b32_f16 v4, v8, v4
	v_mov_b32_e32 v8, s3
	v_add_co_u32_e32 v2, vcc, s6, v2
	v_addc_co_u32_e32 v3, vcc, v3, v8, vcc
	global_load_dword v8, v[2:3], off
	ds_write2_b32 v92, v5, v4 offset0:43 offset1:106
	v_mov_b32_e32 v4, s3
	v_add_co_u32_e32 v2, vcc, s6, v2
	v_addc_co_u32_e32 v3, vcc, v3, v4, vcc
	global_load_dword v4, v[2:3], off
	v_mov_b32_e32 v5, s0
	v_add_co_u32_e32 v2, vcc, s1, v2
	v_addc_co_u32_e32 v3, vcc, v3, v5, vcc
	global_load_dword v5, v[2:3], off
	v_mov_b32_e32 v12, s3
	v_add_co_u32_e32 v2, vcc, s6, v2
	v_addc_co_u32_e32 v3, vcc, v3, v12, vcc
	global_load_dword v12, v[2:3], off
	global_load_dword v129, v123, s[12:13] offset:4032
	v_mov_b32_e32 v13, s3
	v_add_co_u32_e32 v2, vcc, s6, v2
	v_addc_co_u32_e32 v3, vcc, v3, v13, vcc
	global_load_dword v13, v[2:3], off
	global_load_dword v128, v[0:1], off offset:2204
	v_mov_b32_e32 v14, s0
	v_add_co_u32_e32 v2, vcc, s1, v2
	v_addc_co_u32_e32 v3, vcc, v3, v14, vcc
	global_load_dword v14, v[2:3], off
	v_mov_b32_e32 v15, s3
	v_add_co_u32_e32 v2, vcc, s6, v2
	v_addc_co_u32_e32 v3, vcc, v3, v15, vcc
	global_load_dword v15, v[2:3], off
	s_movk_i32 s7, 0x13b
	v_add_co_u32_e32 v77, vcc, s7, v149
	v_mov_b32_e32 v18, s3
	v_add_co_u32_e32 v2, vcc, s6, v2
	v_addc_co_u32_e32 v3, vcc, v3, v18, vcc
	global_load_dword v18, v[2:3], off
	global_load_dword v126, v[0:1], off offset:2456
	s_waitcnt vmcnt(14)
	v_lshrrev_b32_e32 v17, 16, v10
	v_mul_f16_sdwa v0, v135, v17 dst_sel:DWORD dst_unused:UNUSED_PAD src0_sel:WORD_1 src1_sel:DWORD
	v_mul_f16_sdwa v1, v135, v10 dst_sel:DWORD dst_unused:UNUSED_PAD src0_sel:WORD_1 src1_sel:DWORD
	v_fma_f16 v0, v135, v10, v0
	v_fma_f16 v1, v135, v17, -v1
	v_pack_b32_f16 v0, v0, v1
	ds_write2_b32 v98, v6, v0 offset0:124 offset1:187
	s_movk_i32 s0, 0x17a
	s_waitcnt vmcnt(13)
	v_lshrrev_b32_e32 v0, 16, v9
	v_mul_f16_sdwa v1, v133, v0 dst_sel:DWORD dst_unused:UNUSED_PAD src0_sel:WORD_1 src1_sel:DWORD
	v_mul_f16_sdwa v2, v133, v9 dst_sel:DWORD dst_unused:UNUSED_PAD src0_sel:WORD_1 src1_sel:DWORD
	v_fma_f16 v1, v133, v9, v1
	v_fma_f16 v0, v133, v0, -v2
	v_pack_b32_f16 v0, v1, v0
	v_add_co_u32_e32 v78, vcc, s0, v149
	s_movk_i32 s0, 0x3aee
	s_movk_i32 s1, 0x1b9
	s_waitcnt vmcnt(12)
	v_lshrrev_b32_e32 v1, 16, v11
	v_mul_f16_sdwa v2, v134, v1 dst_sel:DWORD dst_unused:UNUSED_PAD src0_sel:WORD_1 src1_sel:DWORD
	v_mul_f16_sdwa v3, v134, v11 dst_sel:DWORD dst_unused:UNUSED_PAD src0_sel:WORD_1 src1_sel:DWORD
	v_fma_f16 v2, v134, v11, v2
	v_fma_f16 v1, v134, v1, -v3
	v_pack_b32_f16 v1, v2, v1
	s_waitcnt vmcnt(11)
	v_lshrrev_b32_e32 v2, 16, v7
	v_mul_f16_sdwa v3, v132, v2 dst_sel:DWORD dst_unused:UNUSED_PAD src0_sel:WORD_1 src1_sel:DWORD
	v_mul_f16_sdwa v6, v132, v7 dst_sel:DWORD dst_unused:UNUSED_PAD src0_sel:WORD_1 src1_sel:DWORD
	v_fma_f16 v3, v132, v7, v3
	v_fma_f16 v2, v132, v2, -v6
	v_pack_b32_f16 v2, v3, v2
	;; [unrolled: 7-line block ×3, first 2 shown]
	ds_write2_b32 v93, v0, v3 offset0:114 offset1:177
	s_waitcnt vmcnt(9)
	v_lshrrev_b32_e32 v0, 16, v4
	v_mul_f16_sdwa v3, v131, v0 dst_sel:DWORD dst_unused:UNUSED_PAD src0_sel:WORD_1 src1_sel:DWORD
	v_fma_f16 v3, v131, v4, v3
	v_mul_f16_sdwa v4, v131, v4 dst_sel:DWORD dst_unused:UNUSED_PAD src0_sel:WORD_1 src1_sel:DWORD
	v_fma_f16 v0, v131, v0, -v4
	v_pack_b32_f16 v0, v3, v0
	ds_write2_b32 v92, v1, v0 offset0:169 offset1:232
	s_waitcnt vmcnt(8)
	v_lshrrev_b32_e32 v0, 16, v5
	v_mul_f16_sdwa v1, v127, v0 dst_sel:DWORD dst_unused:UNUSED_PAD src0_sel:WORD_1 src1_sel:DWORD
	v_mul_f16_sdwa v3, v127, v5 dst_sel:DWORD dst_unused:UNUSED_PAD src0_sel:WORD_1 src1_sel:DWORD
	v_fma_f16 v1, v127, v5, v1
	v_fma_f16 v0, v127, v0, -v3
	v_pack_b32_f16 v0, v1, v0
	ds_write2_b32 v153, v2, v0 offset0:122 offset1:185
	s_waitcnt vmcnt(7)
	v_lshrrev_b32_e32 v0, 16, v12
	s_waitcnt vmcnt(6)
	v_mul_f16_sdwa v1, v129, v0 dst_sel:DWORD dst_unused:UNUSED_PAD src0_sel:WORD_1 src1_sel:DWORD
	v_mul_f16_sdwa v2, v129, v12 dst_sel:DWORD dst_unused:UNUSED_PAD src0_sel:WORD_1 src1_sel:DWORD
	v_fma_f16 v1, v129, v12, v1
	v_fma_f16 v0, v129, v0, -v2
	v_pack_b32_f16 v0, v1, v0
	s_waitcnt vmcnt(5)
	v_lshrrev_b32_e32 v1, 16, v13
	s_waitcnt vmcnt(4)
	v_mul_f16_sdwa v2, v128, v1 dst_sel:DWORD dst_unused:UNUSED_PAD src0_sel:WORD_1 src1_sel:DWORD
	v_mul_f16_sdwa v3, v128, v13 dst_sel:DWORD dst_unused:UNUSED_PAD src0_sel:WORD_1 src1_sel:DWORD
	v_fma_f16 v2, v128, v13, v2
	v_fma_f16 v1, v128, v1, -v3
	v_pack_b32_f16 v1, v2, v1
	s_waitcnt vmcnt(3)
	v_lshrrev_b32_e32 v2, 16, v14
	v_mul_f16_sdwa v3, v125, v2 dst_sel:DWORD dst_unused:UNUSED_PAD src0_sel:WORD_1 src1_sel:DWORD
	v_mul_f16_sdwa v4, v125, v14 dst_sel:DWORD dst_unused:UNUSED_PAD src0_sel:WORD_1 src1_sel:DWORD
	v_fma_f16 v3, v125, v14, v3
	v_fma_f16 v2, v125, v2, -v4
	v_pack_b32_f16 v2, v3, v2
	ds_write_b32 v123, v2 offset:2016
	s_waitcnt vmcnt(2)
	v_lshrrev_b32_e32 v2, 16, v15
	v_mul_f16_sdwa v3, v124, v2 dst_sel:DWORD dst_unused:UNUSED_PAD src0_sel:WORD_1 src1_sel:DWORD
	v_mul_f16_sdwa v4, v124, v15 dst_sel:DWORD dst_unused:UNUSED_PAD src0_sel:WORD_1 src1_sel:DWORD
	v_fma_f16 v3, v124, v15, v3
	v_fma_f16 v2, v124, v2, -v4
	v_pack_b32_f16 v2, v3, v2
	ds_write2_b32 v95, v0, v2 offset0:112 offset1:175
	s_waitcnt vmcnt(1)
	v_lshrrev_b32_e32 v0, 16, v18
	s_waitcnt vmcnt(0)
	v_mul_f16_sdwa v2, v126, v0 dst_sel:DWORD dst_unused:UNUSED_PAD src0_sel:WORD_1 src1_sel:DWORD
	v_mul_f16_sdwa v3, v126, v18 dst_sel:DWORD dst_unused:UNUSED_PAD src0_sel:WORD_1 src1_sel:DWORD
	v_fma_f16 v2, v126, v18, v2
	v_fma_f16 v0, v126, v0, -v3
	v_pack_b32_f16 v0, v2, v0
	v_add_u32_e32 v2, 0x1800, v123
	ds_write2_b32 v2, v1, v0 offset0:39 offset1:102
	s_waitcnt lgkmcnt(0)
	; wave barrier
	s_waitcnt lgkmcnt(0)
	ds_read2_b32 v[20:21], v123 offset1:63
	ds_read2_b32 v[22:23], v74 offset0:118 offset1:181
	ds_read2_b32 v[24:25], v91 offset0:110 offset1:173
	v_mul_lo_u16_e32 v0, 3, v149
	v_lshlrev_b32_e32 v152, 2, v0
	s_waitcnt lgkmcnt(1)
	v_pk_add_f16 v0, v21, v22
	s_waitcnt lgkmcnt(0)
	v_pk_add_f16 v18, v0, v25
	v_pk_add_f16 v0, v22, v25
	v_pk_add_f16 v1, v22, v25 neg_lo:[0,1] neg_hi:[0,1]
	v_pk_fma_f16 v0, v0, 0.5, v21 op_sel_hi:[1,0,1] neg_lo:[1,0,0] neg_hi:[1,0,0]
	v_pk_mul_f16 v1, v1, s0 op_sel_hi:[1,0]
	v_pk_add_f16 v2, v0, v1 op_sel:[0,1] op_sel_hi:[1,0]
	v_pk_add_f16 v0, v0, v1 op_sel:[0,1] op_sel_hi:[1,0] neg_lo:[0,1] neg_hi:[0,1]
	v_bfi_b32 v19, s2, v2, v0
	v_bfi_b32 v17, s2, v0, v2
	ds_read2_b32 v[21:22], v123 offset0:126 offset1:189
	ds_read2_b32 v[26:27], v94 offset0:108 offset1:171
	;; [unrolled: 1-line block ×10, first 2 shown]
	s_waitcnt lgkmcnt(3)
	v_pk_add_f16 v25, v7, v24
	v_pk_add_f16 v28, v20, v7
	v_pk_add_f16 v7, v7, v24 neg_lo:[0,1] neg_hi:[0,1]
	v_pk_fma_f16 v25, v25, 0.5, v20 op_sel_hi:[1,0,1] neg_lo:[1,0,0] neg_hi:[1,0,0]
	v_pk_mul_f16 v7, v7, s0 op_sel_hi:[1,0]
	v_pk_add_f16 v29, v25, v7 op_sel:[0,1] op_sel_hi:[1,0]
	v_pk_add_f16 v30, v25, v7 op_sel:[0,1] op_sel_hi:[1,0] neg_lo:[0,1] neg_hi:[0,1]
	v_pk_add_f16 v28, v28, v24
	v_bfi_b32 v7, s2, v29, v30
	ds_read_b32 v20, v123 offset:6552
	s_waitcnt lgkmcnt(0)
	; wave barrier
	s_waitcnt lgkmcnt(0)
	ds_write2_b32 v152, v28, v7 offset1:1
	v_pk_add_f16 v7, v23, v26
	v_pk_add_f16 v24, v21, v23
	v_pk_fma_f16 v7, v7, 0.5, v21 op_sel_hi:[1,0,1] neg_lo:[1,0,0] neg_hi:[1,0,0]
	v_pk_add_f16 v21, v23, v26 neg_lo:[0,1] neg_hi:[0,1]
	v_pk_mul_f16 v21, v21, s0 op_sel_hi:[1,0]
	v_pk_add_f16 v23, v7, v21 op_sel:[0,1] op_sel_hi:[1,0]
	v_pk_add_f16 v7, v7, v21 op_sel:[0,1] op_sel_hi:[1,0] neg_lo:[0,1] neg_hi:[0,1]
	v_bfi_b32 v25, s2, v23, v7
	v_bfi_b32 v21, s2, v7, v23
	v_pk_add_f16 v7, v2, v27
	v_pk_fma_f16 v23, v7, 0.5, v22 op_sel_hi:[1,0,1] neg_lo:[1,0,0] neg_hi:[1,0,0]
	v_pk_add_f16 v22, v22, v2
	v_pk_add_f16 v2, v2, v27 neg_lo:[0,1] neg_hi:[0,1]
	v_pk_mul_f16 v2, v2, s0 op_sel_hi:[1,0]
	v_add_co_u32_e32 v7, vcc, s1, v149
	s_movk_i32 s1, 0x1f8
	v_pk_add_f16 v22, v22, v27
	v_pk_add_f16 v27, v23, v2 op_sel:[0,1] op_sel_hi:[1,0]
	v_pk_add_f16 v2, v23, v2 op_sel:[0,1] op_sel_hi:[1,0] neg_lo:[0,1] neg_hi:[0,1]
	v_pk_add_f16 v26, v24, v26
	v_bfi_b32 v24, s2, v27, v2
	v_bfi_b32 v23, s2, v2, v27
	v_add_co_u32_e32 v2, vcc, s1, v149
	v_add_co_u32_e32 v79, vcc, 63, v149
	v_mul_u32_u24_e32 v28, 3, v79
	v_bfi_b32 v27, s2, v30, v29
	v_lshlrev_b32_e32 v163, 2, v28
	ds_write_b32 v152, v27 offset:8
	ds_write2_b32 v163, v18, v19 offset1:1
	v_pk_add_f16 v18, v8, v3
	v_pk_add_f16 v19, v3, v4
	v_pk_add_f16 v3, v3, v4 neg_lo:[0,1] neg_hi:[0,1]
	v_pk_fma_f16 v8, v19, 0.5, v8 op_sel_hi:[1,0,1] neg_lo:[1,0,0] neg_hi:[1,0,0]
	v_pk_mul_f16 v3, v3, s0 op_sel_hi:[1,0]
	v_pk_add_f16 v19, v8, v3 op_sel:[0,1] op_sel_hi:[1,0]
	v_pk_add_f16 v3, v8, v3 op_sel:[0,1] op_sel_hi:[1,0] neg_lo:[0,1] neg_hi:[0,1]
	v_bfi_b32 v8, s2, v19, v3
	v_bfi_b32 v3, s2, v3, v19
	v_pk_add_f16 v19, v0, v5
	v_pk_fma_f16 v19, v19, 0.5, v9 op_sel_hi:[1,0,1] neg_lo:[1,0,0] neg_hi:[1,0,0]
	v_pk_add_f16 v9, v9, v0
	v_pk_add_f16 v0, v0, v5 neg_lo:[0,1] neg_hi:[0,1]
	v_pk_mul_f16 v0, v0, s0 op_sel_hi:[1,0]
	v_pk_add_f16 v9, v9, v5
	v_pk_add_f16 v5, v19, v0 op_sel:[0,1] op_sel_hi:[1,0]
	v_pk_add_f16 v0, v19, v0 op_sel:[0,1] op_sel_hi:[1,0] neg_lo:[0,1] neg_hi:[0,1]
	v_pk_add_f16 v4, v18, v4
	v_bfi_b32 v18, s2, v5, v0
	v_bfi_b32 v0, s2, v0, v5
	v_mul_u32_u24_e32 v5, 3, v76
	v_lshlrev_b32_e32 v169, 2, v5
	v_mul_u32_u24_e32 v5, 3, v77
	ds_write_b32 v163, v17 offset:8
	v_lshlrev_b32_e32 v170, 2, v5
	v_pk_add_f16 v5, v14, v1
	v_pk_add_f16 v17, v1, v12
	v_pk_add_f16 v1, v1, v12 neg_lo:[0,1] neg_hi:[0,1]
	v_pk_fma_f16 v14, v17, 0.5, v14 op_sel_hi:[1,0,1] neg_lo:[1,0,0] neg_hi:[1,0,0]
	v_pk_mul_f16 v1, v1, s0 op_sel_hi:[1,0]
	v_pk_add_f16 v17, v14, v1 op_sel:[0,1] op_sel_hi:[1,0]
	v_pk_add_f16 v1, v14, v1 op_sel:[0,1] op_sel_hi:[1,0] neg_lo:[0,1] neg_hi:[0,1]
	v_bfi_b32 v14, s2, v17, v1
	v_bfi_b32 v1, s2, v1, v17
	v_pk_add_f16 v17, v10, v13
	v_pk_fma_f16 v17, v17, 0.5, v15 op_sel_hi:[1,0,1] neg_lo:[1,0,0] neg_hi:[1,0,0]
	v_pk_add_f16 v15, v15, v10
	v_pk_add_f16 v10, v10, v13 neg_lo:[0,1] neg_hi:[0,1]
	v_mul_u32_u24_e32 v27, 3, v75
	v_pk_mul_f16 v10, v10, s0 op_sel_hi:[1,0]
	v_lshlrev_b32_e32 v164, 2, v27
	v_mul_u32_u24_e32 v27, 3, v73
	v_pk_add_f16 v5, v5, v12
	v_pk_add_f16 v12, v15, v13
	v_pk_add_f16 v13, v17, v10 op_sel:[0,1] op_sel_hi:[1,0]
	v_pk_add_f16 v10, v17, v10 op_sel:[0,1] op_sel_hi:[1,0] neg_lo:[0,1] neg_hi:[0,1]
	v_lshlrev_b32_e32 v166, 2, v27
	v_mul_u32_u24_e32 v19, 3, v78
	v_bfi_b32 v15, s2, v13, v10
	v_bfi_b32 v10, s2, v10, v13
	v_mul_u32_u24_e32 v13, 3, v7
	ds_write2_b32 v164, v26, v25 offset1:1
	v_lshlrev_b32_e32 v171, 2, v19
	v_lshlrev_b32_e32 v173, 2, v13
	ds_write_b32 v164, v21 offset:8
	ds_write2_b32 v166, v22, v24 offset1:1
	ds_write_b32 v166, v23 offset:8
	ds_write2_b32 v169, v4, v8 offset1:1
	;; [unrolled: 2-line block ×5, first 2 shown]
	ds_write_b32 v173, v10 offset:8
	v_pk_add_f16 v0, v11, v20
	v_pk_add_f16 v1, v11, v20 neg_lo:[0,1] neg_hi:[0,1]
	v_pk_fma_f16 v0, v0, 0.5, v6 op_sel_hi:[1,0,1] neg_lo:[1,0,0] neg_hi:[1,0,0]
	v_pk_mul_f16 v1, v1, s0 op_sel_hi:[1,0]
	v_mul_u32_u24_e32 v13, 3, v2
	v_pk_add_f16 v3, v0, v1 op_sel:[0,1] op_sel_hi:[1,0]
	v_pk_add_f16 v0, v0, v1 op_sel:[0,1] op_sel_hi:[1,0] neg_lo:[0,1] neg_hi:[0,1]
	v_lshlrev_b32_e32 v172, 2, v13
	v_bfi_b32 v1, s2, v3, v0
	v_bfi_b32 v0, s2, v0, v3
	s_movk_i32 s1, 0xab
	ds_write_b32 v172, v0 offset:8
	v_mul_lo_u16_sdwa v0, v149, s1 dst_sel:DWORD dst_unused:UNUSED_PAD src0_sel:BYTE_0 src1_sel:DWORD
	v_lshrrev_b16_e32 v8, 9, v0
	v_mul_lo_u16_e32 v0, 3, v8
	v_sub_u16_e32 v0, v149, v0
	v_pk_add_f16 v13, v6, v11
	v_and_b32_e32 v9, 0xff, v0
	v_pk_add_f16 v13, v13, v20
	v_lshlrev_b32_e32 v0, 3, v9
	ds_write2_b32 v172, v13, v1 offset1:1
	s_waitcnt lgkmcnt(0)
	; wave barrier
	s_waitcnt lgkmcnt(0)
	global_load_dwordx2 v[17:18], v0, s[14:15]
	v_mul_lo_u16_sdwa v3, v79, s1 dst_sel:DWORD dst_unused:UNUSED_PAD src0_sel:BYTE_0 src1_sel:DWORD
	v_lshrrev_b16_e32 v47, 9, v3
	v_mul_lo_u16_e32 v3, 3, v47
	v_sub_u16_e32 v3, v79, v3
	v_and_b32_e32 v48, 0xff, v3
	v_mul_lo_u16_sdwa v3, v75, s1 dst_sel:DWORD dst_unused:UNUSED_PAD src0_sel:BYTE_0 src1_sel:DWORD
	v_lshrrev_b16_e32 v49, 9, v3
	v_mul_lo_u16_e32 v3, 3, v49
	v_sub_u16_e32 v3, v75, v3
	v_and_b32_e32 v50, 0xff, v3
	v_mul_lo_u16_sdwa v3, v73, s1 dst_sel:DWORD dst_unused:UNUSED_PAD src0_sel:BYTE_0 src1_sel:DWORD
	v_lshrrev_b16_e32 v51, 9, v3
	v_mul_lo_u16_e32 v3, 3, v51
	v_sub_u16_e32 v3, v73, v3
	v_lshlrev_b32_e32 v5, 3, v48
	v_and_b32_e32 v52, 0xff, v3
	ds_read2_b32 v[0:1], v96 offset0:120 offset1:183
	v_lshlrev_b32_e32 v6, 3, v50
	v_lshlrev_b32_e32 v11, 3, v52
	ds_read2_b32 v[3:4], v91 offset0:110 offset1:173
	global_load_dwordx2 v[23:24], v5, s[14:15]
	global_load_dwordx2 v[21:22], v6, s[14:15]
	;; [unrolled: 1-line block ×3, first 2 shown]
	ds_read2_b32 v[5:6], v123 offset1:63
	s_waitcnt lgkmcnt(2)
	v_lshrrev_b32_e32 v10, 16, v1
	s_mov_b32 s1, 0xbaee
	s_waitcnt lgkmcnt(1)
	v_lshrrev_b32_e32 v12, 16, v3
	s_mov_b32 s2, 0xaaab
	s_waitcnt lgkmcnt(0)
	v_lshrrev_b32_e32 v14, 16, v5
	ds_read_b32 v66, v123 offset:6552
	v_addc_co_u32_e64 v80, s[6:7], 0, 0, vcc
	s_waitcnt vmcnt(3)
	v_mul_f16_sdwa v11, v1, v17 dst_sel:DWORD dst_unused:UNUSED_PAD src0_sel:DWORD src1_sel:WORD_1
	v_fma_f16 v11, v10, v17, v11
	v_mul_f16_sdwa v13, v3, v18 dst_sel:DWORD dst_unused:UNUSED_PAD src0_sel:DWORD src1_sel:WORD_1
	v_mul_f16_sdwa v10, v10, v17 dst_sel:DWORD dst_unused:UNUSED_PAD src0_sel:DWORD src1_sel:WORD_1
	v_fma_f16 v13, v12, v18, v13
	v_fma_f16 v1, v1, v17, -v10
	v_mul_f16_sdwa v10, v12, v18 dst_sel:DWORD dst_unused:UNUSED_PAD src0_sel:DWORD src1_sel:WORD_1
	v_add_f16_e32 v15, v14, v11
	v_sub_f16_e32 v53, v11, v13
	v_add_f16_e32 v11, v11, v13
	v_fma_f16 v3, v3, v18, -v10
	v_fma_f16 v54, v11, -0.5, v14
	v_add_f16_e32 v10, v5, v1
	v_add_f16_e32 v11, v1, v3
	;; [unrolled: 1-line block ×3, first 2 shown]
	v_sub_f16_e32 v1, v1, v3
	v_mul_u32_u24_e32 v3, 9, v8
	v_fma_f16 v5, v11, -0.5, v5
	v_add_lshl_u32 v154, v3, v9, 2
	v_fma_f16 v8, v53, s0, v5
	v_fma_f16 v9, v1, s1, v54
	v_add_f16_e32 v15, v15, v13
	v_pack_b32_f16 v55, v8, v9
	v_mul_u32_u24_sdwa v8, v76, s2 dst_sel:DWORD dst_unused:UNUSED_PAD src0_sel:WORD_0 src1_sel:DWORD
	v_pack_b32_f16 v3, v10, v15
	v_lshrrev_b32_e32 v56, 17, v8
	v_mul_u32_u24_sdwa v9, v77, s2 dst_sel:DWORD dst_unused:UNUSED_PAD src0_sel:WORD_0 src1_sel:DWORD
	v_mul_u32_u24_sdwa v10, v78, s2 dst_sel:DWORD dst_unused:UNUSED_PAD src0_sel:WORD_0 src1_sel:DWORD
	;; [unrolled: 1-line block ×4, first 2 shown]
	v_mul_lo_u16_e32 v8, 3, v56
	v_lshrrev_b32_e32 v58, 17, v9
	v_lshrrev_b32_e32 v60, 17, v10
	;; [unrolled: 1-line block ×4, first 2 shown]
	v_sub_u16_e32 v57, v76, v8
	v_mul_lo_u16_e32 v9, 3, v58
	v_mul_lo_u16_e32 v10, 3, v60
	;; [unrolled: 1-line block ×4, first 2 shown]
	v_lshlrev_b16_e32 v8, 1, v57
	v_sub_u16_e32 v59, v77, v9
	v_sub_u16_e32 v61, v78, v10
	v_sub_u16_e32 v63, v7, v11
	v_sub_u16_e32 v65, v2, v12
	v_lshlrev_b32_e32 v8, 2, v8
	v_lshlrev_b16_e32 v9, 1, v59
	v_lshlrev_b16_e32 v10, 1, v61
	;; [unrolled: 1-line block ×4, first 2 shown]
	v_lshlrev_b32_e32 v9, 2, v9
	v_lshlrev_b32_e32 v10, 2, v10
	v_lshlrev_b32_e32 v11, 2, v11
	v_lshlrev_b32_e32 v12, 2, v12
	global_load_dwordx2 v[39:40], v8, s[14:15]
	global_load_dwordx2 v[35:36], v9, s[14:15]
	;; [unrolled: 1-line block ×5, first 2 shown]
	ds_read2_b32 v[8:9], v74 offset0:118 offset1:181
	ds_read2_b32 v[10:11], v123 offset0:126 offset1:189
	;; [unrolled: 1-line block ×10, first 2 shown]
	s_waitcnt lgkmcnt(0)
	; wave barrier
	s_waitcnt lgkmcnt(0)
	ds_write2_b32 v154, v3, v55 offset1:3
	v_lshrrev_b32_e32 v3, 16, v4
	s_waitcnt vmcnt(7)
	v_mul_f16_sdwa v55, v3, v24 dst_sel:DWORD dst_unused:UNUSED_PAD src0_sel:DWORD src1_sel:WORD_1
	v_fma_f16 v55, v4, v24, -v55
	v_mul_f16_sdwa v4, v4, v24 dst_sel:DWORD dst_unused:UNUSED_PAD src0_sel:DWORD src1_sel:WORD_1
	v_fma_f16 v3, v3, v24, v4
	v_fma_f16 v4, v53, s1, v5
	v_lshrrev_b32_e32 v5, 16, v8
	v_mul_f16_sdwa v53, v8, v23 dst_sel:DWORD dst_unused:UNUSED_PAD src0_sel:DWORD src1_sel:WORD_1
	v_fma_f16 v53, v5, v23, v53
	v_mul_f16_sdwa v5, v5, v23 dst_sel:DWORD dst_unused:UNUSED_PAD src0_sel:DWORD src1_sel:WORD_1
	v_fma_f16 v1, v1, s0, v54
	v_fma_f16 v5, v8, v23, -v5
	v_lshrrev_b32_e32 v54, 16, v6
	v_add_f16_e32 v8, v5, v55
	v_add_f16_e32 v67, v54, v53
	v_fma_f16 v8, v8, -0.5, v6
	v_add_f16_e32 v6, v6, v5
	v_add_f16_e32 v67, v67, v3
	v_sub_f16_e32 v68, v53, v3
	v_add_f16_e32 v3, v53, v3
	v_pack_b32_f16 v1, v4, v1
	v_fma_f16 v3, v3, -0.5, v54
	v_add_f16_e32 v6, v6, v55
	v_sub_f16_e32 v5, v5, v55
	ds_write_b32 v154, v1 offset:24
	v_mul_u32_u24_e32 v1, 9, v47
	v_add_lshl_u32 v156, v1, v48, 2
	v_pack_b32_f16 v1, v6, v67
	v_fma_f16 v4, v68, s0, v8
	v_fma_f16 v6, v5, s1, v3
	v_pack_b32_f16 v4, v4, v6
	ds_write2_b32 v156, v1, v4 offset1:3
	v_lshrrev_b32_e32 v1, 16, v9
	s_waitcnt vmcnt(6)
	v_mul_f16_sdwa v6, v9, v21 dst_sel:DWORD dst_unused:UNUSED_PAD src0_sel:DWORD src1_sel:WORD_1
	v_mul_f16_sdwa v4, v1, v21 dst_sel:DWORD dst_unused:UNUSED_PAD src0_sel:DWORD src1_sel:WORD_1
	v_fma_f16 v1, v1, v21, v6
	v_fma_f16 v6, v68, s1, v8
	;; [unrolled: 1-line block ×3, first 2 shown]
	v_lshrrev_b32_e32 v5, 16, v12
	v_mul_f16_sdwa v8, v12, v22 dst_sel:DWORD dst_unused:UNUSED_PAD src0_sel:DWORD src1_sel:WORD_1
	v_fma_f16 v4, v9, v21, -v4
	v_fma_f16 v8, v5, v22, v8
	v_lshrrev_b32_e32 v9, 16, v10
	v_mul_f16_sdwa v5, v5, v22 dst_sel:DWORD dst_unused:UNUSED_PAD src0_sel:DWORD src1_sel:WORD_1
	v_add_f16_e32 v47, v9, v1
	v_sub_f16_e32 v48, v1, v8
	v_add_f16_e32 v1, v1, v8
	v_fma_f16 v5, v12, v22, -v5
	v_add_f16_e32 v47, v47, v8
	v_fma_f16 v1, v1, -0.5, v9
	v_add_f16_e32 v8, v10, v4
	v_add_f16_e32 v9, v4, v5
	v_pack_b32_f16 v3, v6, v3
	v_add_f16_e32 v8, v8, v5
	v_sub_f16_e32 v4, v4, v5
	ds_write_b32 v156, v3 offset:24
	v_mul_u32_u24_e32 v3, 9, v49
	v_fma_f16 v5, v9, -0.5, v10
	v_add_lshl_u32 v157, v3, v50, 2
	v_pack_b32_f16 v3, v8, v47
	v_fma_f16 v6, v48, s0, v5
	v_fma_f16 v8, v4, s1, v1
	v_pack_b32_f16 v6, v6, v8
	ds_write2_b32 v157, v3, v6 offset1:3
	v_lshrrev_b32_e32 v3, 16, v13
	s_waitcnt vmcnt(5)
	v_mul_f16_sdwa v8, v13, v20 dst_sel:DWORD dst_unused:UNUSED_PAD src0_sel:DWORD src1_sel:WORD_1
	v_mul_f16_sdwa v6, v3, v20 dst_sel:DWORD dst_unused:UNUSED_PAD src0_sel:DWORD src1_sel:WORD_1
	v_fma_f16 v3, v3, v20, v8
	v_fma_f16 v1, v4, s0, v1
	v_lshrrev_b32_e32 v4, 16, v14
	v_mul_f16_sdwa v8, v14, v19 dst_sel:DWORD dst_unused:UNUSED_PAD src0_sel:DWORD src1_sel:WORD_1
	v_fma_f16 v8, v4, v19, v8
	v_mul_f16_sdwa v4, v4, v19 dst_sel:DWORD dst_unused:UNUSED_PAD src0_sel:DWORD src1_sel:WORD_1
	v_lshrrev_b32_e32 v10, 16, v11
	v_fma_f16 v6, v13, v20, -v6
	v_fma_f16 v4, v14, v19, -v4
	v_add_f16_e32 v12, v10, v8
	v_fma_f16 v5, v48, s1, v5
	v_add_f16_e32 v9, v4, v6
	v_add_f16_e32 v12, v12, v3
	v_sub_f16_e32 v13, v8, v3
	v_add_f16_e32 v3, v8, v3
	v_fma_f16 v9, v9, -0.5, v11
	v_add_f16_e32 v11, v11, v4
	v_fma_f16 v3, v3, -0.5, v10
	v_sub_f16_e32 v4, v4, v6
	v_pack_b32_f16 v1, v5, v1
	v_add_f16_e32 v8, v11, v6
	ds_write_b32 v157, v1 offset:24
	v_mul_u32_u24_e32 v1, 9, v51
	v_fma_f16 v5, v13, s0, v9
	v_fma_f16 v6, v4, s1, v3
	v_add_lshl_u32 v160, v1, v52, 2
	v_pack_b32_f16 v1, v8, v12
	v_pack_b32_f16 v5, v5, v6
	ds_write2_b32 v160, v1, v5 offset1:3
	v_lshrrev_b32_e32 v1, 16, v15
	s_waitcnt vmcnt(4)
	v_mul_f16_sdwa v6, v15, v39 dst_sel:DWORD dst_unused:UNUSED_PAD src0_sel:DWORD src1_sel:WORD_1
	v_fma_f16 v3, v4, s0, v3
	v_lshrrev_b32_e32 v4, 16, v33
	v_mul_f16_sdwa v8, v33, v40 dst_sel:DWORD dst_unused:UNUSED_PAD src0_sel:DWORD src1_sel:WORD_1
	v_mul_f16_sdwa v5, v1, v39 dst_sel:DWORD dst_unused:UNUSED_PAD src0_sel:DWORD src1_sel:WORD_1
	v_fma_f16 v1, v1, v39, v6
	v_fma_f16 v6, v13, s1, v9
	;; [unrolled: 1-line block ×3, first 2 shown]
	v_lshrrev_b32_e32 v9, 16, v31
	v_mul_f16_sdwa v4, v4, v40 dst_sel:DWORD dst_unused:UNUSED_PAD src0_sel:DWORD src1_sel:WORD_1
	v_fma_f16 v5, v15, v39, -v5
	v_add_f16_e32 v10, v9, v1
	v_sub_f16_e32 v11, v1, v8
	v_add_f16_e32 v1, v1, v8
	v_fma_f16 v4, v33, v40, -v4
	v_add_f16_e32 v10, v10, v8
	v_fma_f16 v1, v1, -0.5, v9
	v_add_f16_e32 v8, v31, v5
	v_add_f16_e32 v9, v5, v4
	;; [unrolled: 1-line block ×3, first 2 shown]
	v_sub_f16_e32 v4, v5, v4
	v_pack_b32_f16 v3, v6, v3
	v_fma_f16 v6, v9, -0.5, v31
	ds_write_b32 v160, v3 offset:24
	v_mad_legacy_u16 v3, v56, 9, v57
	v_pack_b32_f16 v5, v8, v10
	v_fma_f16 v8, v11, s0, v6
	v_fma_f16 v9, v4, s1, v1
	v_pack_b32_f16 v8, v8, v9
	v_lshlrev_b32_e32 v162, 2, v3
	ds_write2_b32 v162, v5, v8 offset1:3
	v_lshrrev_b32_e32 v3, 16, v34
	s_waitcnt vmcnt(3)
	v_mul_f16_sdwa v8, v34, v36 dst_sel:DWORD dst_unused:UNUSED_PAD src0_sel:DWORD src1_sel:WORD_1
	v_mul_f16_sdwa v5, v3, v36 dst_sel:DWORD dst_unused:UNUSED_PAD src0_sel:DWORD src1_sel:WORD_1
	v_fma_f16 v3, v3, v36, v8
	v_fma_f16 v1, v4, s0, v1
	v_lshrrev_b32_e32 v4, 16, v37
	v_mul_f16_sdwa v8, v37, v35 dst_sel:DWORD dst_unused:UNUSED_PAD src0_sel:DWORD src1_sel:WORD_1
	v_fma_f16 v8, v4, v35, v8
	v_mul_f16_sdwa v4, v4, v35 dst_sel:DWORD dst_unused:UNUSED_PAD src0_sel:DWORD src1_sel:WORD_1
	v_lshrrev_b32_e32 v10, 16, v32
	v_fma_f16 v5, v34, v36, -v5
	v_fma_f16 v4, v37, v35, -v4
	v_add_f16_e32 v12, v10, v8
	v_fma_f16 v6, v11, s1, v6
	v_add_f16_e32 v9, v4, v5
	v_add_f16_e32 v11, v32, v4
	;; [unrolled: 1-line block ×3, first 2 shown]
	v_sub_f16_e32 v13, v8, v3
	v_add_f16_e32 v3, v8, v3
	v_fma_f16 v9, v9, -0.5, v32
	v_fma_f16 v3, v3, -0.5, v10
	v_add_f16_e32 v8, v11, v5
	v_sub_f16_e32 v4, v4, v5
	v_pack_b32_f16 v1, v6, v1
	ds_write_b32 v162, v1 offset:24
	v_mad_legacy_u16 v1, v58, 9, v59
	v_pack_b32_f16 v5, v8, v12
	v_fma_f16 v6, v13, s0, v9
	v_fma_f16 v8, v4, s1, v3
	v_pack_b32_f16 v6, v6, v8
	v_lshlrev_b32_e32 v168, 2, v1
	ds_write2_b32 v168, v5, v6 offset1:3
	v_lshrrev_b32_e32 v1, 16, v38
	s_waitcnt vmcnt(2)
	v_mul_f16_sdwa v6, v38, v29 dst_sel:DWORD dst_unused:UNUSED_PAD src0_sel:DWORD src1_sel:WORD_1
	v_fma_f16 v3, v4, s0, v3
	v_lshrrev_b32_e32 v4, 16, v43
	v_mul_f16_sdwa v8, v43, v30 dst_sel:DWORD dst_unused:UNUSED_PAD src0_sel:DWORD src1_sel:WORD_1
	v_mul_f16_sdwa v5, v1, v29 dst_sel:DWORD dst_unused:UNUSED_PAD src0_sel:DWORD src1_sel:WORD_1
	v_fma_f16 v1, v1, v29, v6
	v_fma_f16 v6, v13, s1, v9
	;; [unrolled: 1-line block ×3, first 2 shown]
	v_lshrrev_b32_e32 v9, 16, v41
	v_mul_f16_sdwa v4, v4, v30 dst_sel:DWORD dst_unused:UNUSED_PAD src0_sel:DWORD src1_sel:WORD_1
	v_fma_f16 v5, v38, v29, -v5
	v_add_f16_e32 v10, v9, v1
	v_sub_f16_e32 v11, v1, v8
	v_add_f16_e32 v1, v1, v8
	v_fma_f16 v4, v43, v30, -v4
	v_add_f16_e32 v10, v10, v8
	v_fma_f16 v1, v1, -0.5, v9
	v_add_f16_e32 v8, v41, v5
	v_add_f16_e32 v9, v5, v4
	;; [unrolled: 1-line block ×3, first 2 shown]
	v_sub_f16_e32 v4, v5, v4
	v_pack_b32_f16 v3, v6, v3
	v_fma_f16 v6, v9, -0.5, v41
	ds_write_b32 v168, v3 offset:24
	v_mad_legacy_u16 v3, v60, 9, v61
	v_pack_b32_f16 v5, v8, v10
	v_fma_f16 v8, v11, s0, v6
	v_fma_f16 v9, v4, s1, v1
	v_pack_b32_f16 v8, v8, v9
	v_lshlrev_b32_e32 v176, 2, v3
	ds_write2_b32 v176, v5, v8 offset1:3
	v_lshrrev_b32_e32 v3, 16, v44
	s_waitcnt vmcnt(1)
	v_mul_f16_sdwa v8, v44, v28 dst_sel:DWORD dst_unused:UNUSED_PAD src0_sel:DWORD src1_sel:WORD_1
	v_mul_f16_sdwa v5, v3, v28 dst_sel:DWORD dst_unused:UNUSED_PAD src0_sel:DWORD src1_sel:WORD_1
	v_fma_f16 v3, v3, v28, v8
	v_fma_f16 v1, v4, s0, v1
	v_lshrrev_b32_e32 v4, 16, v45
	v_mul_f16_sdwa v8, v45, v27 dst_sel:DWORD dst_unused:UNUSED_PAD src0_sel:DWORD src1_sel:WORD_1
	v_fma_f16 v8, v4, v27, v8
	v_mul_f16_sdwa v4, v4, v27 dst_sel:DWORD dst_unused:UNUSED_PAD src0_sel:DWORD src1_sel:WORD_1
	v_lshrrev_b32_e32 v10, 16, v42
	v_fma_f16 v5, v44, v28, -v5
	v_fma_f16 v4, v45, v27, -v4
	v_add_f16_e32 v12, v10, v8
	v_fma_f16 v6, v11, s1, v6
	v_add_f16_e32 v9, v4, v5
	v_add_f16_e32 v11, v42, v4
	;; [unrolled: 1-line block ×3, first 2 shown]
	v_sub_f16_e32 v13, v8, v3
	v_add_f16_e32 v3, v8, v3
	v_fma_f16 v9, v9, -0.5, v42
	v_fma_f16 v3, v3, -0.5, v10
	v_add_f16_e32 v8, v11, v5
	v_sub_f16_e32 v4, v4, v5
	v_pack_b32_f16 v1, v6, v1
	ds_write_b32 v176, v1 offset:24
	v_mad_legacy_u16 v1, v62, 9, v63
	v_pack_b32_f16 v5, v8, v12
	v_fma_f16 v6, v13, s0, v9
	v_fma_f16 v8, v4, s1, v3
	v_pack_b32_f16 v6, v6, v8
	v_lshlrev_b32_e32 v179, 2, v1
	ds_write2_b32 v179, v5, v6 offset1:3
	v_lshrrev_b32_e32 v1, 16, v46
	s_waitcnt vmcnt(0)
	v_mul_f16_sdwa v6, v46, v25 dst_sel:DWORD dst_unused:UNUSED_PAD src0_sel:DWORD src1_sel:WORD_1
	v_mul_f16_sdwa v5, v1, v25 dst_sel:DWORD dst_unused:UNUSED_PAD src0_sel:DWORD src1_sel:WORD_1
	v_fma_f16 v1, v1, v25, v6
	v_lshrrev_b32_e32 v6, 16, v66
	v_mul_f16_sdwa v8, v6, v26 dst_sel:DWORD dst_unused:UNUSED_PAD src0_sel:DWORD src1_sel:WORD_1
	v_mul_f16_sdwa v10, v66, v26 dst_sel:DWORD dst_unused:UNUSED_PAD src0_sel:DWORD src1_sel:WORD_1
	v_fma_f16 v5, v46, v25, -v5
	v_fma_f16 v8, v66, v26, -v8
	v_fma_f16 v6, v6, v26, v10
	v_lshrrev_b32_e32 v10, 16, v0
	v_fma_f16 v9, v13, s1, v9
	v_fma_f16 v3, v4, s0, v3
	v_add_f16_e32 v4, v5, v8
	v_add_f16_e32 v11, v10, v1
	v_sub_f16_e32 v12, v1, v6
	v_add_f16_e32 v1, v1, v6
	v_fma_f16 v4, v4, -0.5, v0
	v_add_f16_e32 v0, v0, v5
	v_fma_f16 v1, v1, -0.5, v10
	v_sub_f16_e32 v5, v5, v8
	v_pack_b32_f16 v3, v9, v3
	v_add_f16_e32 v11, v11, v6
	v_add_f16_e32 v0, v0, v8
	ds_write_b32 v179, v3 offset:24
	v_mad_legacy_u16 v3, v64, 9, v65
	v_fma_f16 v6, v12, s0, v4
	v_fma_f16 v8, v5, s1, v1
	v_pack_b32_f16 v0, v0, v11
	v_pack_b32_f16 v6, v6, v8
	v_lshlrev_b32_e32 v181, 2, v3
	ds_write2_b32 v181, v0, v6 offset1:3
	v_fma_f16 v0, v12, s1, v4
	v_fma_f16 v1, v5, s0, v1
	v_pack_b32_f16 v0, v0, v1
	ds_write_b32 v181, v0 offset:24
	v_mov_b32_e32 v0, 57
	v_mul_lo_u16_sdwa v1, v149, v0 dst_sel:DWORD dst_unused:UNUSED_PAD src0_sel:BYTE_0 src1_sel:DWORD
	v_lshrrev_b16_e32 v8, 9, v1
	v_mul_lo_u16_e32 v1, 9, v8
	v_sub_u16_e32 v1, v149, v1
	v_and_b32_e32 v9, 0xff, v1
	v_lshlrev_b32_e32 v1, 3, v9
	s_waitcnt lgkmcnt(0)
	; wave barrier
	s_waitcnt lgkmcnt(0)
	global_load_dwordx2 v[31:32], v1, s[14:15] offset:24
	v_mul_lo_u16_sdwa v1, v79, v0 dst_sel:DWORD dst_unused:UNUSED_PAD src0_sel:BYTE_0 src1_sel:DWORD
	v_lshrrev_b16_e32 v63, 9, v1
	v_mul_lo_u16_e32 v1, 9, v63
	v_sub_u16_e32 v1, v79, v1
	v_and_b32_e32 v64, 0xff, v1
	v_mul_lo_u16_sdwa v1, v75, v0 dst_sel:DWORD dst_unused:UNUSED_PAD src0_sel:BYTE_0 src1_sel:DWORD
	v_mul_lo_u16_sdwa v0, v73, v0 dst_sel:DWORD dst_unused:UNUSED_PAD src0_sel:BYTE_0 src1_sel:DWORD
	v_lshrrev_b16_e32 v65, 9, v1
	v_lshrrev_b16_e32 v67, 9, v0
	v_mul_lo_u16_e32 v1, 9, v65
	v_mul_lo_u16_e32 v0, 9, v67
	v_sub_u16_e32 v1, v75, v1
	v_sub_u16_e32 v0, v73, v0
	v_and_b32_e32 v66, 0xff, v1
	v_and_b32_e32 v68, 0xff, v0
	v_lshlrev_b32_e32 v5, 3, v64
	ds_read2_b32 v[3:4], v96 offset0:120 offset1:183
	ds_read2_b32 v[0:1], v91 offset0:110 offset1:173
	v_lshlrev_b32_e32 v6, 3, v66
	v_lshlrev_b32_e32 v11, 3, v68
	global_load_dwordx2 v[41:42], v5, s[14:15] offset:24
	global_load_dwordx2 v[37:38], v6, s[14:15] offset:24
	;; [unrolled: 1-line block ×3, first 2 shown]
	ds_read2_b32 v[5:6], v123 offset1:63
	s_waitcnt lgkmcnt(2)
	v_lshrrev_b32_e32 v10, 16, v4
	s_waitcnt lgkmcnt(1)
	v_lshrrev_b32_e32 v12, 16, v0
	s_mov_b32 s2, 0xe38f
	v_mul_u32_u24_e32 v63, 27, v63
	s_waitcnt lgkmcnt(0)
	v_lshrrev_b32_e32 v14, 16, v5
	v_add_lshl_u32 v159, v63, v64, 2
	s_waitcnt vmcnt(3)
	v_mul_f16_sdwa v11, v4, v31 dst_sel:DWORD dst_unused:UNUSED_PAD src0_sel:DWORD src1_sel:WORD_1
	v_fma_f16 v11, v10, v31, v11
	v_mul_f16_sdwa v13, v0, v32 dst_sel:DWORD dst_unused:UNUSED_PAD src0_sel:DWORD src1_sel:WORD_1
	v_mul_f16_sdwa v10, v10, v31 dst_sel:DWORD dst_unused:UNUSED_PAD src0_sel:DWORD src1_sel:WORD_1
	v_fma_f16 v13, v12, v32, v13
	v_fma_f16 v4, v4, v31, -v10
	v_mul_f16_sdwa v10, v12, v32 dst_sel:DWORD dst_unused:UNUSED_PAD src0_sel:DWORD src1_sel:WORD_1
	v_add_f16_e32 v15, v14, v11
	v_sub_f16_e32 v69, v11, v13
	v_add_f16_e32 v11, v11, v13
	v_fma_f16 v0, v0, v32, -v10
	v_add_f16_e32 v10, v5, v4
	v_fma_f16 v70, v11, -0.5, v14
	v_add_f16_e32 v10, v10, v0
	v_add_f16_e32 v11, v4, v0
	v_sub_f16_e32 v71, v4, v0
	v_mul_lo_u16_e32 v0, 27, v8
	v_and_b32_e32 v0, 0xff, v0
	v_fma_f16 v81, v11, -0.5, v5
	v_add_lshl_u32 v155, v0, v9, 2
	v_fma_f16 v0, v69, s0, v81
	v_fma_f16 v4, v71, s1, v70
	v_pack_b32_f16 v82, v0, v4
	v_mul_u32_u24_sdwa v0, v76, s2 dst_sel:DWORD dst_unused:UNUSED_PAD src0_sel:WORD_0 src1_sel:DWORD
	v_lshrrev_b32_e32 v83, 19, v0
	v_mul_lo_u16_e32 v0, 9, v83
	v_mul_u32_u24_sdwa v8, v77, s2 dst_sel:DWORD dst_unused:UNUSED_PAD src0_sel:WORD_0 src1_sel:DWORD
	v_add_f16_e32 v15, v15, v13
	v_sub_u16_e32 v84, v76, v0
	v_lshrrev_b32_e32 v85, 19, v8
	v_pack_b32_f16 v72, v10, v15
	v_lshlrev_b16_e32 v4, 3, v84
	v_mul_lo_u16_e32 v8, 9, v85
	v_mul_u32_u24_sdwa v10, v78, s2 dst_sel:DWORD dst_unused:UNUSED_PAD src0_sel:WORD_0 src1_sel:DWORD
	v_mov_b32_e32 v0, s15
	v_add_co_u32_e32 v4, vcc, s14, v4
	v_sub_u16_e32 v86, v77, v8
	v_lshrrev_b32_e32 v87, 19, v10
	v_addc_co_u32_e32 v5, vcc, 0, v0, vcc
	v_lshlrev_b16_e32 v8, 3, v86
	v_mul_lo_u16_e32 v10, 9, v87
	v_mul_u32_u24_sdwa v12, v7, s2 dst_sel:DWORD dst_unused:UNUSED_PAD src0_sel:WORD_0 src1_sel:DWORD
	v_add_co_u32_e32 v8, vcc, s14, v8
	v_sub_u16_e32 v88, v78, v10
	v_lshrrev_b32_e32 v89, 19, v12
	v_addc_co_u32_e32 v9, vcc, 0, v0, vcc
	v_lshlrev_b16_e32 v10, 3, v88
	v_mul_lo_u16_e32 v12, 9, v89
	v_add_co_u32_e32 v10, vcc, s14, v10
	v_sub_u16_e32 v90, v7, v12
	v_addc_co_u32_e32 v11, vcc, 0, v0, vcc
	v_lshlrev_b16_e32 v12, 3, v90
	v_add_co_u32_e32 v12, vcc, s14, v12
	v_addc_co_u32_e32 v13, vcc, 0, v0, vcc
	global_load_dwordx2 v[53:54], v[4:5], off offset:24
	global_load_dwordx2 v[49:50], v[8:9], off offset:24
	;; [unrolled: 1-line block ×4, first 2 shown]
	v_mul_u32_u24_sdwa v4, v2, s2 dst_sel:DWORD dst_unused:UNUSED_PAD src0_sel:WORD_0 src1_sel:DWORD
	v_lshrrev_b32_e32 v100, 19, v4
	v_mul_lo_u16_e32 v4, 9, v100
	v_sub_u16_e32 v101, v2, v4
	v_lshlrev_b16_e32 v4, 3, v101
	v_add_co_u32_e32 v4, vcc, s14, v4
	v_addc_co_u32_e32 v5, vcc, 0, v0, vcc
	global_load_dwordx2 v[45:46], v[4:5], off offset:24
	ds_read_b32 v102, v123 offset:6552
	ds_read2_b32 v[4:5], v74 offset0:118 offset1:181
	ds_read2_b32 v[8:9], v123 offset0:126 offset1:189
	;; [unrolled: 1-line block ×10, first 2 shown]
	s_waitcnt lgkmcnt(0)
	; wave barrier
	s_waitcnt lgkmcnt(0)
	ds_write2_b32 v155, v72, v82 offset1:9
	v_lshrrev_b32_e32 v72, 16, v1
	s_waitcnt vmcnt(7)
	v_mul_f16_sdwa v82, v72, v42 dst_sel:DWORD dst_unused:UNUSED_PAD src0_sel:DWORD src1_sel:WORD_1
	v_fma_f16 v82, v1, v42, -v82
	v_mul_f16_sdwa v1, v1, v42 dst_sel:DWORD dst_unused:UNUSED_PAD src0_sel:DWORD src1_sel:WORD_1
	v_fma_f16 v1, v72, v42, v1
	v_fma_f16 v70, v71, s0, v70
	v_lshrrev_b32_e32 v71, 16, v4
	v_mul_f16_sdwa v72, v4, v41 dst_sel:DWORD dst_unused:UNUSED_PAD src0_sel:DWORD src1_sel:WORD_1
	v_fma_f16 v69, v69, s1, v81
	v_fma_f16 v72, v71, v41, v72
	v_mul_f16_sdwa v71, v71, v41 dst_sel:DWORD dst_unused:UNUSED_PAD src0_sel:DWORD src1_sel:WORD_1
	v_lshrrev_b32_e32 v81, 16, v6
	v_fma_f16 v4, v4, v41, -v71
	v_add_f16_e32 v103, v81, v72
	v_add_f16_e32 v71, v4, v82
	;; [unrolled: 1-line block ×3, first 2 shown]
	v_sub_f16_e32 v104, v72, v1
	v_add_f16_e32 v1, v72, v1
	v_fma_f16 v71, v71, -0.5, v6
	v_add_f16_e32 v6, v6, v4
	v_fma_f16 v1, v1, -0.5, v81
	v_sub_f16_e32 v4, v4, v82
	v_add_f16_e32 v6, v6, v82
	v_fma_f16 v63, v104, s0, v71
	v_fma_f16 v64, v4, s1, v1
	v_pack_b32_f16 v69, v69, v70
	v_pack_b32_f16 v6, v6, v103
	;; [unrolled: 1-line block ×3, first 2 shown]
	ds_write_b32 v155, v69 offset:72
	ds_write2_b32 v159, v6, v63 offset1:9
	v_lshrrev_b32_e32 v6, 16, v5
	s_waitcnt vmcnt(6)
	v_mul_f16_sdwa v63, v6, v37 dst_sel:DWORD dst_unused:UNUSED_PAD src0_sel:DWORD src1_sel:WORD_1
	v_fma_f16 v63, v5, v37, -v63
	v_mul_f16_sdwa v5, v5, v37 dst_sel:DWORD dst_unused:UNUSED_PAD src0_sel:DWORD src1_sel:WORD_1
	v_fma_f16 v1, v4, s0, v1
	v_lshrrev_b32_e32 v4, 16, v10
	v_mul_f16_sdwa v64, v10, v38 dst_sel:DWORD dst_unused:UNUSED_PAD src0_sel:DWORD src1_sel:WORD_1
	v_fma_f16 v5, v6, v37, v5
	v_fma_f16 v64, v4, v38, v64
	v_lshrrev_b32_e32 v69, 16, v8
	v_mul_f16_sdwa v4, v4, v38 dst_sel:DWORD dst_unused:UNUSED_PAD src0_sel:DWORD src1_sel:WORD_1
	v_fma_f16 v6, v104, s1, v71
	v_add_f16_e32 v70, v69, v5
	v_fma_f16 v4, v10, v38, -v4
	v_add_f16_e32 v70, v70, v64
	v_sub_f16_e32 v71, v5, v64
	v_add_f16_e32 v5, v5, v64
	v_add_f16_e32 v10, v8, v63
	v_add_f16_e32 v64, v63, v4
	v_pack_b32_f16 v1, v6, v1
	v_fma_f16 v5, v5, -0.5, v69
	v_add_f16_e32 v10, v10, v4
	v_sub_f16_e32 v4, v63, v4
	ds_write_b32 v159, v1 offset:72
	v_mul_u32_u24_e32 v1, 27, v65
	v_fma_f16 v6, v64, -0.5, v8
	v_add_lshl_u32 v161, v1, v66, 2
	v_pack_b32_f16 v1, v10, v70
	v_fma_f16 v8, v71, s0, v6
	v_fma_f16 v10, v4, s1, v5
	v_pack_b32_f16 v8, v8, v10
	ds_write2_b32 v161, v1, v8 offset1:9
	v_lshrrev_b32_e32 v1, 16, v11
	s_waitcnt vmcnt(5)
	v_mul_f16_sdwa v10, v11, v34 dst_sel:DWORD dst_unused:UNUSED_PAD src0_sel:DWORD src1_sel:WORD_1
	v_mul_f16_sdwa v8, v1, v34 dst_sel:DWORD dst_unused:UNUSED_PAD src0_sel:DWORD src1_sel:WORD_1
	v_fma_f16 v1, v1, v34, v10
	v_fma_f16 v4, v4, s0, v5
	v_lshrrev_b32_e32 v5, 16, v12
	v_mul_f16_sdwa v10, v12, v33 dst_sel:DWORD dst_unused:UNUSED_PAD src0_sel:DWORD src1_sel:WORD_1
	v_fma_f16 v10, v5, v33, v10
	v_mul_f16_sdwa v5, v5, v33 dst_sel:DWORD dst_unused:UNUSED_PAD src0_sel:DWORD src1_sel:WORD_1
	v_fma_f16 v5, v12, v33, -v5
	v_lshrrev_b32_e32 v12, 16, v9
	v_fma_f16 v8, v11, v34, -v8
	v_add_f16_e32 v63, v12, v10
	v_fma_f16 v6, v71, s1, v6
	v_add_f16_e32 v11, v5, v8
	v_add_f16_e32 v63, v63, v1
	v_sub_f16_e32 v64, v10, v1
	v_add_f16_e32 v1, v10, v1
	v_fma_f16 v11, v11, -0.5, v9
	v_add_f16_e32 v9, v9, v5
	v_fma_f16 v1, v1, -0.5, v12
	v_sub_f16_e32 v5, v5, v8
	v_pack_b32_f16 v4, v6, v4
	v_add_f16_e32 v9, v9, v8
	ds_write_b32 v161, v4 offset:72
	v_mul_u32_u24_e32 v4, 27, v67
	v_fma_f16 v6, v64, s0, v11
	v_fma_f16 v8, v5, s1, v1
	v_add_lshl_u32 v165, v4, v68, 2
	v_pack_b32_f16 v4, v9, v63
	v_pack_b32_f16 v6, v6, v8
	ds_write2_b32 v165, v4, v6 offset1:9
	v_lshrrev_b32_e32 v4, 16, v13
	s_waitcnt vmcnt(4)
	v_mul_f16_sdwa v8, v13, v53 dst_sel:DWORD dst_unused:UNUSED_PAD src0_sel:DWORD src1_sel:WORD_1
	v_fma_f16 v1, v5, s0, v1
	v_lshrrev_b32_e32 v5, 16, v51
	v_mul_f16_sdwa v9, v51, v54 dst_sel:DWORD dst_unused:UNUSED_PAD src0_sel:DWORD src1_sel:WORD_1
	v_mul_f16_sdwa v6, v4, v53 dst_sel:DWORD dst_unused:UNUSED_PAD src0_sel:DWORD src1_sel:WORD_1
	v_fma_f16 v4, v4, v53, v8
	v_fma_f16 v9, v5, v54, v9
	v_lshrrev_b32_e32 v10, 16, v14
	v_mul_f16_sdwa v5, v5, v54 dst_sel:DWORD dst_unused:UNUSED_PAD src0_sel:DWORD src1_sel:WORD_1
	v_fma_f16 v6, v13, v53, -v6
	v_fma_f16 v8, v64, s1, v11
	v_add_f16_e32 v11, v10, v4
	v_sub_f16_e32 v12, v4, v9
	v_add_f16_e32 v4, v4, v9
	v_fma_f16 v5, v51, v54, -v5
	v_add_f16_e32 v11, v11, v9
	v_fma_f16 v4, v4, -0.5, v10
	v_add_f16_e32 v9, v14, v6
	v_add_f16_e32 v10, v6, v5
	v_add_f16_e32 v9, v9, v5
	v_sub_f16_e32 v5, v6, v5
	v_pack_b32_f16 v1, v8, v1
	v_fma_f16 v8, v10, -0.5, v14
	ds_write_b32 v165, v1 offset:72
	v_mad_legacy_u16 v1, v83, 27, v84
	v_pack_b32_f16 v6, v9, v11
	v_fma_f16 v9, v12, s0, v8
	v_fma_f16 v10, v5, s1, v4
	v_pack_b32_f16 v9, v9, v10
	v_lshlrev_b32_e32 v174, 2, v1
	ds_write2_b32 v174, v6, v9 offset1:9
	v_lshrrev_b32_e32 v1, 16, v52
	s_waitcnt vmcnt(3)
	v_mul_f16_sdwa v9, v52, v50 dst_sel:DWORD dst_unused:UNUSED_PAD src0_sel:DWORD src1_sel:WORD_1
	v_mul_f16_sdwa v6, v1, v50 dst_sel:DWORD dst_unused:UNUSED_PAD src0_sel:DWORD src1_sel:WORD_1
	v_fma_f16 v1, v1, v50, v9
	v_fma_f16 v4, v5, s0, v4
	v_lshrrev_b32_e32 v5, 16, v55
	v_mul_f16_sdwa v9, v55, v49 dst_sel:DWORD dst_unused:UNUSED_PAD src0_sel:DWORD src1_sel:WORD_1
	v_fma_f16 v9, v5, v49, v9
	v_mul_f16_sdwa v5, v5, v49 dst_sel:DWORD dst_unused:UNUSED_PAD src0_sel:DWORD src1_sel:WORD_1
	v_lshrrev_b32_e32 v11, 16, v15
	v_fma_f16 v6, v52, v50, -v6
	v_fma_f16 v5, v55, v49, -v5
	v_add_f16_e32 v13, v11, v9
	v_fma_f16 v8, v12, s1, v8
	v_add_f16_e32 v10, v5, v6
	v_add_f16_e32 v12, v15, v5
	;; [unrolled: 1-line block ×3, first 2 shown]
	v_sub_f16_e32 v14, v9, v1
	v_add_f16_e32 v1, v9, v1
	v_fma_f16 v10, v10, -0.5, v15
	v_fma_f16 v1, v1, -0.5, v11
	v_add_f16_e32 v9, v12, v6
	v_sub_f16_e32 v5, v5, v6
	v_pack_b32_f16 v4, v8, v4
	ds_write_b32 v174, v4 offset:72
	v_mad_legacy_u16 v4, v85, 27, v86
	v_pack_b32_f16 v6, v9, v13
	v_fma_f16 v8, v14, s0, v10
	v_fma_f16 v9, v5, s1, v1
	v_pack_b32_f16 v8, v8, v9
	v_lshlrev_b32_e32 v177, 2, v4
	ds_write2_b32 v177, v6, v8 offset1:9
	v_lshrrev_b32_e32 v4, 16, v56
	s_waitcnt vmcnt(2)
	v_mul_f16_sdwa v8, v56, v47 dst_sel:DWORD dst_unused:UNUSED_PAD src0_sel:DWORD src1_sel:WORD_1
	v_fma_f16 v1, v5, s0, v1
	v_lshrrev_b32_e32 v5, 16, v59
	v_mul_f16_sdwa v9, v59, v48 dst_sel:DWORD dst_unused:UNUSED_PAD src0_sel:DWORD src1_sel:WORD_1
	v_mul_f16_sdwa v6, v4, v47 dst_sel:DWORD dst_unused:UNUSED_PAD src0_sel:DWORD src1_sel:WORD_1
	v_fma_f16 v4, v4, v47, v8
	v_fma_f16 v8, v14, s1, v10
	;; [unrolled: 1-line block ×3, first 2 shown]
	v_lshrrev_b32_e32 v10, 16, v57
	v_mul_f16_sdwa v5, v5, v48 dst_sel:DWORD dst_unused:UNUSED_PAD src0_sel:DWORD src1_sel:WORD_1
	v_fma_f16 v6, v56, v47, -v6
	v_add_f16_e32 v11, v10, v4
	v_sub_f16_e32 v12, v4, v9
	v_add_f16_e32 v4, v4, v9
	v_fma_f16 v5, v59, v48, -v5
	v_add_f16_e32 v11, v11, v9
	v_fma_f16 v4, v4, -0.5, v10
	v_add_f16_e32 v9, v57, v6
	v_add_f16_e32 v10, v6, v5
	;; [unrolled: 1-line block ×3, first 2 shown]
	v_sub_f16_e32 v5, v6, v5
	v_pack_b32_f16 v1, v8, v1
	v_fma_f16 v8, v10, -0.5, v57
	ds_write_b32 v177, v1 offset:72
	v_mad_legacy_u16 v1, v87, 27, v88
	v_pack_b32_f16 v6, v9, v11
	v_fma_f16 v9, v12, s0, v8
	v_fma_f16 v10, v5, s1, v4
	v_pack_b32_f16 v9, v9, v10
	v_lshlrev_b32_e32 v180, 2, v1
	ds_write2_b32 v180, v6, v9 offset1:9
	v_lshrrev_b32_e32 v1, 16, v60
	s_waitcnt vmcnt(1)
	v_mul_f16_sdwa v9, v60, v44 dst_sel:DWORD dst_unused:UNUSED_PAD src0_sel:DWORD src1_sel:WORD_1
	v_mul_f16_sdwa v6, v1, v44 dst_sel:DWORD dst_unused:UNUSED_PAD src0_sel:DWORD src1_sel:WORD_1
	v_fma_f16 v1, v1, v44, v9
	v_fma_f16 v4, v5, s0, v4
	v_lshrrev_b32_e32 v5, 16, v61
	v_mul_f16_sdwa v9, v61, v43 dst_sel:DWORD dst_unused:UNUSED_PAD src0_sel:DWORD src1_sel:WORD_1
	v_fma_f16 v9, v5, v43, v9
	v_mul_f16_sdwa v5, v5, v43 dst_sel:DWORD dst_unused:UNUSED_PAD src0_sel:DWORD src1_sel:WORD_1
	v_lshrrev_b32_e32 v11, 16, v58
	v_fma_f16 v6, v60, v44, -v6
	v_fma_f16 v5, v61, v43, -v5
	v_add_f16_e32 v13, v11, v9
	v_fma_f16 v8, v12, s1, v8
	v_add_f16_e32 v10, v5, v6
	v_add_f16_e32 v12, v58, v5
	;; [unrolled: 1-line block ×3, first 2 shown]
	v_sub_f16_e32 v14, v9, v1
	v_add_f16_e32 v1, v9, v1
	v_fma_f16 v10, v10, -0.5, v58
	v_fma_f16 v1, v1, -0.5, v11
	v_add_f16_e32 v9, v12, v6
	v_sub_f16_e32 v5, v5, v6
	v_pack_b32_f16 v4, v8, v4
	ds_write_b32 v180, v4 offset:72
	v_mad_legacy_u16 v4, v89, 27, v90
	v_pack_b32_f16 v6, v9, v13
	v_fma_f16 v8, v14, s0, v10
	v_fma_f16 v9, v5, s1, v1
	v_pack_b32_f16 v8, v8, v9
	v_lshlrev_b32_e32 v183, 2, v4
	ds_write2_b32 v183, v6, v8 offset1:9
	v_lshrrev_b32_e32 v4, 16, v62
	s_waitcnt vmcnt(0)
	v_mul_f16_sdwa v8, v62, v45 dst_sel:DWORD dst_unused:UNUSED_PAD src0_sel:DWORD src1_sel:WORD_1
	v_mul_f16_sdwa v6, v4, v45 dst_sel:DWORD dst_unused:UNUSED_PAD src0_sel:DWORD src1_sel:WORD_1
	v_fma_f16 v4, v4, v45, v8
	v_lshrrev_b32_e32 v8, 16, v102
	v_mul_f16_sdwa v9, v8, v46 dst_sel:DWORD dst_unused:UNUSED_PAD src0_sel:DWORD src1_sel:WORD_1
	v_mul_f16_sdwa v11, v102, v46 dst_sel:DWORD dst_unused:UNUSED_PAD src0_sel:DWORD src1_sel:WORD_1
	v_fma_f16 v6, v62, v45, -v6
	v_fma_f16 v9, v102, v46, -v9
	v_fma_f16 v8, v8, v46, v11
	v_lshrrev_b32_e32 v11, 16, v3
	v_fma_f16 v10, v14, s1, v10
	v_fma_f16 v1, v5, s0, v1
	v_add_f16_e32 v5, v6, v9
	v_add_f16_e32 v12, v11, v4
	v_sub_f16_e32 v13, v4, v8
	v_add_f16_e32 v4, v4, v8
	v_fma_f16 v5, v5, -0.5, v3
	v_add_f16_e32 v3, v3, v6
	v_fma_f16 v4, v4, -0.5, v11
	v_sub_f16_e32 v6, v6, v9
	v_pack_b32_f16 v1, v10, v1
	v_add_f16_e32 v12, v12, v8
	v_add_f16_e32 v3, v3, v9
	ds_write_b32 v183, v1 offset:72
	v_mad_legacy_u16 v1, v100, 27, v101
	v_fma_f16 v8, v13, s0, v5
	v_fma_f16 v9, v6, s1, v4
	v_pack_b32_f16 v3, v3, v12
	v_pack_b32_f16 v8, v8, v9
	v_lshlrev_b32_e32 v185, 2, v1
	ds_write2_b32 v185, v3, v8 offset1:9
	v_fma_f16 v1, v13, s1, v5
	v_fma_f16 v3, v6, s0, v4
	v_pack_b32_f16 v1, v1, v3
	ds_write_b32 v185, v1 offset:72
	v_mov_b32_e32 v1, 19
	v_mul_lo_u16_sdwa v3, v149, v1 dst_sel:DWORD dst_unused:UNUSED_PAD src0_sel:BYTE_0 src1_sel:DWORD
	v_lshrrev_b16_e32 v10, 9, v3
	v_mul_lo_u16_e32 v3, 27, v10
	v_sub_u16_e32 v3, v149, v3
	v_and_b32_e32 v11, 0xff, v3
	v_lshlrev_b32_e32 v3, 3, v11
	s_waitcnt lgkmcnt(0)
	; wave barrier
	s_waitcnt lgkmcnt(0)
	global_load_dwordx2 v[51:52], v3, s[14:15] offset:96
	s_movk_i32 s2, 0x2f69
	v_mul_u32_u24_sdwa v3, v76, s2 dst_sel:DWORD dst_unused:UNUSED_PAD src0_sel:WORD_0 src1_sel:DWORD
	v_mul_lo_u16_sdwa v8, v79, v1 dst_sel:DWORD dst_unused:UNUSED_PAD src0_sel:BYTE_0 src1_sel:DWORD
	v_sub_u16_sdwa v4, v76, v3 dst_sel:DWORD dst_unused:UNUSED_PAD src0_sel:DWORD src1_sel:WORD_1
	v_lshrrev_b16_e32 v100, 9, v8
	v_lshrrev_b16_e32 v4, 1, v4
	v_mul_lo_u16_e32 v8, 27, v100
	v_add_u16_sdwa v12, v4, v3 dst_sel:DWORD dst_unused:UNUSED_PAD src0_sel:DWORD src1_sel:WORD_1
	v_mul_u32_u24_sdwa v3, v77, s2 dst_sel:DWORD dst_unused:UNUSED_PAD src0_sel:WORD_0 src1_sel:DWORD
	v_sub_u16_e32 v8, v79, v8
	v_sub_u16_sdwa v4, v77, v3 dst_sel:DWORD dst_unused:UNUSED_PAD src0_sel:DWORD src1_sel:WORD_1
	v_and_b32_e32 v101, 0xff, v8
	v_mul_lo_u16_sdwa v8, v75, v1 dst_sel:DWORD dst_unused:UNUSED_PAD src0_sel:BYTE_0 src1_sel:DWORD
	v_lshrrev_b16_e32 v4, 1, v4
	v_lshrrev_b16_e32 v102, 9, v8
	v_add_u16_sdwa v13, v4, v3 dst_sel:DWORD dst_unused:UNUSED_PAD src0_sel:DWORD src1_sel:WORD_1
	v_mul_u32_u24_sdwa v3, v78, s2 dst_sel:DWORD dst_unused:UNUSED_PAD src0_sel:WORD_0 src1_sel:DWORD
	v_mul_lo_u16_e32 v8, 27, v102
	v_mul_lo_u16_sdwa v1, v73, v1 dst_sel:DWORD dst_unused:UNUSED_PAD src0_sel:BYTE_0 src1_sel:DWORD
	v_sub_u16_sdwa v4, v78, v3 dst_sel:DWORD dst_unused:UNUSED_PAD src0_sel:DWORD src1_sel:WORD_1
	v_sub_u16_e32 v8, v75, v8
	v_lshrrev_b16_e32 v1, 9, v1
	v_lshrrev_b16_e32 v4, 1, v4
	v_and_b32_e32 v103, 0xff, v8
	v_mul_lo_u16_e32 v8, 27, v1
	v_add_u16_sdwa v14, v4, v3 dst_sel:DWORD dst_unused:UNUSED_PAD src0_sel:DWORD src1_sel:WORD_1
	v_mul_u32_u24_sdwa v3, v7, s2 dst_sel:DWORD dst_unused:UNUSED_PAD src0_sel:WORD_0 src1_sel:DWORD
	v_mul_u32_u24_sdwa v5, v2, s2 dst_sel:DWORD dst_unused:UNUSED_PAD src0_sel:WORD_0 src1_sel:DWORD
	v_sub_u16_e32 v8, v73, v8
	v_sub_u16_sdwa v4, v7, v3 dst_sel:DWORD dst_unused:UNUSED_PAD src0_sel:DWORD src1_sel:WORD_1
	v_sub_u16_sdwa v6, v2, v5 dst_sel:DWORD dst_unused:UNUSED_PAD src0_sel:DWORD src1_sel:WORD_1
	v_and_b32_e32 v104, 0xff, v8
	v_lshrrev_b16_e32 v4, 1, v4
	v_lshrrev_b16_e32 v6, 1, v6
	v_lshlrev_b32_e32 v8, 3, v101
	v_lshlrev_b32_e32 v55, 3, v104
	v_add_u16_sdwa v15, v4, v3 dst_sel:DWORD dst_unused:UNUSED_PAD src0_sel:DWORD src1_sel:WORD_1
	ds_read2_b32 v[3:4], v96 offset0:120 offset1:183
	v_add_u16_sdwa v61, v6, v5 dst_sel:DWORD dst_unused:UNUSED_PAD src0_sel:DWORD src1_sel:WORD_1
	ds_read2_b32 v[5:6], v91 offset0:110 offset1:173
	v_lshlrev_b32_e32 v9, 3, v103
	global_load_dwordx2 v[59:60], v8, s[14:15] offset:96
	global_load_dwordx2 v[57:58], v9, s[14:15] offset:96
	s_nop 0
	global_load_dwordx2 v[55:56], v55, s[14:15] offset:96
	ds_read2_b32 v[8:9], v123 offset1:63
	s_waitcnt lgkmcnt(2)
	v_lshrrev_b32_e32 v62, 16, v4
	s_waitcnt lgkmcnt(1)
	v_lshrrev_b32_e32 v64, 16, v5
	v_lshrrev_b16_e32 v110, 4, v12
	v_lshrrev_b16_e32 v112, 4, v13
	s_waitcnt lgkmcnt(0)
	v_lshrrev_b32_e32 v66, 16, v8
	v_lshrrev_b16_e32 v114, 4, v14
	v_mul_lo_u16_e32 v12, 27, v114
	v_sub_u16_e32 v115, v78, v12
	v_lshrrev_b16_e32 v116, 4, v15
	v_lshlrev_b16_e32 v12, 3, v115
	v_mul_lo_u16_e32 v14, 27, v116
	v_sub_u16_e32 v117, v7, v14
	v_lshlrev_b16_e32 v14, 3, v117
	v_lshrrev_b16_e32 v118, 4, v61
	v_mul_u32_u24_e32 v1, 0x51, v1
	v_add_lshl_u32 v178, v1, v104, 2
	s_movk_i32 s2, 0x51
	s_waitcnt vmcnt(3)
	v_mul_f16_sdwa v63, v4, v51 dst_sel:DWORD dst_unused:UNUSED_PAD src0_sel:DWORD src1_sel:WORD_1
	v_fma_f16 v63, v62, v51, v63
	v_mul_f16_sdwa v65, v5, v52 dst_sel:DWORD dst_unused:UNUSED_PAD src0_sel:DWORD src1_sel:WORD_1
	v_mul_f16_sdwa v62, v62, v51 dst_sel:DWORD dst_unused:UNUSED_PAD src0_sel:DWORD src1_sel:WORD_1
	v_fma_f16 v65, v64, v52, v65
	v_fma_f16 v4, v4, v51, -v62
	v_mul_f16_sdwa v62, v64, v52 dst_sel:DWORD dst_unused:UNUSED_PAD src0_sel:DWORD src1_sel:WORD_1
	v_add_f16_e32 v67, v66, v63
	v_sub_f16_e32 v105, v63, v65
	v_add_f16_e32 v63, v63, v65
	v_fma_f16 v5, v5, v52, -v62
	v_fma_f16 v106, v63, -0.5, v66
	v_add_f16_e32 v62, v8, v4
	v_add_f16_e32 v63, v4, v5
	v_sub_f16_e32 v107, v4, v5
	v_mul_lo_u16_e32 v4, 0x51, v10
	v_and_b32_e32 v4, 0xff, v4
	v_fma_f16 v8, v63, -0.5, v8
	v_add_f16_e32 v62, v62, v5
	v_add_lshl_u32 v158, v4, v11, 2
	v_fma_f16 v4, v105, s0, v8
	v_fma_f16 v5, v107, s1, v106
	v_pack_b32_f16 v109, v4, v5
	v_mul_lo_u16_e32 v4, 27, v110
	v_sub_u16_e32 v111, v76, v4
	v_lshlrev_b16_e32 v4, 3, v111
	v_mul_lo_u16_e32 v10, 27, v112
	v_add_co_u32_e32 v4, vcc, s14, v4
	v_sub_u16_e32 v113, v77, v10
	v_addc_co_u32_e32 v5, vcc, 0, v0, vcc
	v_lshlrev_b16_e32 v10, 3, v113
	v_add_co_u32_e32 v10, vcc, s14, v10
	v_addc_co_u32_e32 v11, vcc, 0, v0, vcc
	v_add_co_u32_e32 v12, vcc, s14, v12
	v_addc_co_u32_e32 v13, vcc, 0, v0, vcc
	v_add_f16_e32 v67, v67, v65
	v_add_co_u32_e32 v14, vcc, s14, v14
	v_pack_b32_f16 v108, v62, v67
	v_addc_co_u32_e32 v15, vcc, 0, v0, vcc
	global_load_dwordx2 v[69:70], v[4:5], off offset:96
	global_load_dwordx2 v[67:68], v[10:11], off offset:96
	;; [unrolled: 1-line block ×4, first 2 shown]
	v_mul_lo_u16_e32 v4, 27, v118
	v_sub_u16_e32 v119, v2, v4
	v_lshlrev_b16_e32 v4, 3, v119
	v_add_co_u32_e32 v4, vcc, s14, v4
	v_addc_co_u32_e32 v5, vcc, 0, v0, vcc
	global_load_dwordx2 v[61:62], v[4:5], off offset:96
	ds_read_b32 v120, v123 offset:6552
	ds_read2_b32 v[4:5], v74 offset0:118 offset1:181
	ds_read2_b32 v[10:11], v123 offset0:126 offset1:189
	;; [unrolled: 1-line block ×10, first 2 shown]
	s_waitcnt lgkmcnt(0)
	; wave barrier
	s_waitcnt lgkmcnt(0)
	ds_write2_b32 v158, v108, v109 offset1:27
	v_lshrrev_b32_e32 v108, 16, v6
	s_waitcnt vmcnt(7)
	v_mul_f16_sdwa v109, v108, v60 dst_sel:DWORD dst_unused:UNUSED_PAD src0_sel:DWORD src1_sel:WORD_1
	v_fma_f16 v8, v105, s1, v8
	v_fma_f16 v105, v107, s0, v106
	v_lshrrev_b32_e32 v106, 16, v4
	v_mul_f16_sdwa v107, v4, v59 dst_sel:DWORD dst_unused:UNUSED_PAD src0_sel:DWORD src1_sel:WORD_1
	v_fma_f16 v109, v6, v60, -v109
	v_mul_f16_sdwa v6, v6, v60 dst_sel:DWORD dst_unused:UNUSED_PAD src0_sel:DWORD src1_sel:WORD_1
	v_fma_f16 v107, v106, v59, v107
	v_mul_f16_sdwa v106, v106, v59 dst_sel:DWORD dst_unused:UNUSED_PAD src0_sel:DWORD src1_sel:WORD_1
	v_fma_f16 v6, v108, v60, v6
	v_fma_f16 v4, v4, v59, -v106
	v_lshrrev_b32_e32 v108, 16, v9
	v_add_f16_e32 v106, v4, v109
	v_add_f16_e32 v121, v108, v107
	v_fma_f16 v106, v106, -0.5, v9
	v_add_f16_e32 v9, v9, v4
	v_add_f16_e32 v121, v121, v6
	v_sub_f16_e32 v122, v107, v6
	v_add_f16_e32 v6, v107, v6
	v_pack_b32_f16 v8, v8, v105
	v_fma_f16 v6, v6, -0.5, v108
	v_add_f16_e32 v9, v9, v109
	v_sub_f16_e32 v4, v4, v109
	ds_write_b32 v158, v8 offset:216
	v_mul_u32_u24_e32 v8, 0x51, v100
	v_add_lshl_u32 v167, v8, v101, 2
	v_pack_b32_f16 v8, v9, v121
	v_fma_f16 v9, v122, s0, v106
	v_fma_f16 v100, v4, s1, v6
	v_pack_b32_f16 v9, v9, v100
	ds_write2_b32 v167, v8, v9 offset1:27
	v_lshrrev_b32_e32 v8, 16, v5
	s_waitcnt vmcnt(6)
	v_mul_f16_sdwa v9, v8, v57 dst_sel:DWORD dst_unused:UNUSED_PAD src0_sel:DWORD src1_sel:WORD_1
	v_fma_f16 v9, v5, v57, -v9
	v_mul_f16_sdwa v5, v5, v57 dst_sel:DWORD dst_unused:UNUSED_PAD src0_sel:DWORD src1_sel:WORD_1
	v_fma_f16 v4, v4, s0, v6
	v_lshrrev_b32_e32 v6, 16, v12
	v_mul_f16_sdwa v100, v12, v58 dst_sel:DWORD dst_unused:UNUSED_PAD src0_sel:DWORD src1_sel:WORD_1
	v_fma_f16 v5, v8, v57, v5
	v_fma_f16 v100, v6, v58, v100
	v_lshrrev_b32_e32 v101, 16, v10
	v_mul_f16_sdwa v6, v6, v58 dst_sel:DWORD dst_unused:UNUSED_PAD src0_sel:DWORD src1_sel:WORD_1
	v_add_f16_e32 v105, v101, v5
	v_fma_f16 v6, v12, v58, -v6
	v_fma_f16 v8, v122, s1, v106
	v_add_f16_e32 v105, v105, v100
	v_sub_f16_e32 v106, v5, v100
	v_add_f16_e32 v5, v5, v100
	v_add_f16_e32 v12, v10, v9
	;; [unrolled: 1-line block ×3, first 2 shown]
	v_fma_f16 v5, v5, -0.5, v101
	v_add_f16_e32 v12, v12, v6
	v_sub_f16_e32 v6, v9, v6
	v_pack_b32_f16 v4, v8, v4
	v_fma_f16 v8, v100, -0.5, v10
	ds_write_b32 v167, v4 offset:216
	v_mul_u32_u24_e32 v4, 0x51, v102
	v_fma_f16 v9, v106, s0, v8
	v_fma_f16 v10, v6, s1, v5
	v_add_lshl_u32 v175, v4, v103, 2
	v_pack_b32_f16 v4, v12, v105
	v_pack_b32_f16 v9, v9, v10
	ds_write2_b32 v175, v4, v9 offset1:27
	v_lshrrev_b32_e32 v4, 16, v13
	s_waitcnt vmcnt(5)
	v_mul_f16_sdwa v10, v13, v56 dst_sel:DWORD dst_unused:UNUSED_PAD src0_sel:DWORD src1_sel:WORD_1
	v_mul_f16_sdwa v9, v4, v56 dst_sel:DWORD dst_unused:UNUSED_PAD src0_sel:DWORD src1_sel:WORD_1
	v_fma_f16 v4, v4, v56, v10
	v_fma_f16 v5, v6, s0, v5
	v_lshrrev_b32_e32 v6, 16, v14
	v_mul_f16_sdwa v10, v14, v55 dst_sel:DWORD dst_unused:UNUSED_PAD src0_sel:DWORD src1_sel:WORD_1
	v_fma_f16 v9, v13, v56, -v9
	v_fma_f16 v10, v6, v55, v10
	v_mul_f16_sdwa v6, v6, v55 dst_sel:DWORD dst_unused:UNUSED_PAD src0_sel:DWORD src1_sel:WORD_1
	v_lshrrev_b32_e32 v13, 16, v11
	v_fma_f16 v6, v14, v55, -v6
	v_add_f16_e32 v14, v13, v10
	v_fma_f16 v8, v106, s1, v8
	v_add_f16_e32 v12, v6, v9
	v_add_f16_e32 v14, v14, v4
	v_sub_f16_e32 v100, v10, v4
	v_add_f16_e32 v4, v10, v4
	v_fma_f16 v12, v12, -0.5, v11
	v_add_f16_e32 v11, v11, v6
	v_fma_f16 v4, v4, -0.5, v13
	v_sub_f16_e32 v6, v6, v9
	v_pack_b32_f16 v5, v8, v5
	v_add_f16_e32 v10, v11, v9
	ds_write_b32 v175, v5 offset:216
	v_fma_f16 v5, v100, s0, v12
	v_fma_f16 v8, v6, s1, v4
	v_pack_b32_f16 v1, v10, v14
	v_pack_b32_f16 v5, v5, v8
	ds_write2_b32 v178, v1, v5 offset1:27
	v_lshrrev_b32_e32 v1, 16, v15
	s_waitcnt vmcnt(4)
	v_mul_f16_sdwa v8, v15, v69 dst_sel:DWORD dst_unused:UNUSED_PAD src0_sel:DWORD src1_sel:WORD_1
	v_fma_f16 v4, v6, s0, v4
	v_lshrrev_b32_e32 v6, 16, v81
	v_mul_f16_sdwa v9, v81, v70 dst_sel:DWORD dst_unused:UNUSED_PAD src0_sel:DWORD src1_sel:WORD_1
	v_mul_f16_sdwa v5, v1, v69 dst_sel:DWORD dst_unused:UNUSED_PAD src0_sel:DWORD src1_sel:WORD_1
	v_fma_f16 v1, v1, v69, v8
	v_fma_f16 v9, v6, v70, v9
	v_lshrrev_b32_e32 v10, 16, v71
	v_mul_f16_sdwa v6, v6, v70 dst_sel:DWORD dst_unused:UNUSED_PAD src0_sel:DWORD src1_sel:WORD_1
	v_fma_f16 v5, v15, v69, -v5
	v_fma_f16 v8, v100, s1, v12
	v_add_f16_e32 v11, v10, v1
	v_sub_f16_e32 v12, v1, v9
	v_add_f16_e32 v1, v1, v9
	v_fma_f16 v6, v81, v70, -v6
	v_add_f16_e32 v11, v11, v9
	v_fma_f16 v1, v1, -0.5, v10
	v_add_f16_e32 v9, v71, v5
	v_add_f16_e32 v10, v5, v6
	;; [unrolled: 1-line block ×3, first 2 shown]
	v_sub_f16_e32 v5, v5, v6
	v_pack_b32_f16 v4, v8, v4
	v_fma_f16 v8, v10, -0.5, v71
	ds_write_b32 v178, v4 offset:216
	v_mad_legacy_u16 v4, v110, s2, v111
	v_pack_b32_f16 v6, v9, v11
	v_fma_f16 v9, v12, s0, v8
	v_fma_f16 v10, v5, s1, v1
	v_pack_b32_f16 v9, v9, v10
	v_lshlrev_b32_e32 v182, 2, v4
	ds_write2_b32 v182, v6, v9 offset1:27
	v_lshrrev_b32_e32 v4, 16, v82
	s_waitcnt vmcnt(3)
	v_mul_f16_sdwa v9, v82, v68 dst_sel:DWORD dst_unused:UNUSED_PAD src0_sel:DWORD src1_sel:WORD_1
	v_mul_f16_sdwa v6, v4, v68 dst_sel:DWORD dst_unused:UNUSED_PAD src0_sel:DWORD src1_sel:WORD_1
	v_fma_f16 v4, v4, v68, v9
	v_fma_f16 v1, v5, s0, v1
	v_lshrrev_b32_e32 v5, 16, v83
	v_mul_f16_sdwa v9, v83, v67 dst_sel:DWORD dst_unused:UNUSED_PAD src0_sel:DWORD src1_sel:WORD_1
	v_fma_f16 v9, v5, v67, v9
	v_mul_f16_sdwa v5, v5, v67 dst_sel:DWORD dst_unused:UNUSED_PAD src0_sel:DWORD src1_sel:WORD_1
	v_lshrrev_b32_e32 v11, 16, v72
	v_fma_f16 v6, v82, v68, -v6
	v_fma_f16 v5, v83, v67, -v5
	v_add_f16_e32 v13, v11, v9
	v_fma_f16 v8, v12, s1, v8
	v_add_f16_e32 v10, v5, v6
	v_add_f16_e32 v12, v72, v5
	;; [unrolled: 1-line block ×3, first 2 shown]
	v_sub_f16_e32 v14, v9, v4
	v_add_f16_e32 v4, v9, v4
	v_fma_f16 v10, v10, -0.5, v72
	v_fma_f16 v4, v4, -0.5, v11
	v_add_f16_e32 v9, v12, v6
	v_sub_f16_e32 v5, v5, v6
	v_pack_b32_f16 v1, v8, v1
	ds_write_b32 v182, v1 offset:216
	v_mad_legacy_u16 v1, v112, s2, v113
	v_pack_b32_f16 v6, v9, v13
	v_fma_f16 v8, v14, s0, v10
	v_fma_f16 v9, v5, s1, v4
	v_pack_b32_f16 v8, v8, v9
	v_lshlrev_b32_e32 v184, 2, v1
	ds_write2_b32 v184, v6, v8 offset1:27
	v_lshrrev_b32_e32 v1, 16, v84
	s_waitcnt vmcnt(2)
	v_mul_f16_sdwa v8, v84, v65 dst_sel:DWORD dst_unused:UNUSED_PAD src0_sel:DWORD src1_sel:WORD_1
	v_fma_f16 v4, v5, s0, v4
	v_lshrrev_b32_e32 v5, 16, v87
	v_mul_f16_sdwa v9, v87, v66 dst_sel:DWORD dst_unused:UNUSED_PAD src0_sel:DWORD src1_sel:WORD_1
	v_mul_f16_sdwa v6, v1, v65 dst_sel:DWORD dst_unused:UNUSED_PAD src0_sel:DWORD src1_sel:WORD_1
	v_fma_f16 v1, v1, v65, v8
	v_fma_f16 v8, v14, s1, v10
	;; [unrolled: 1-line block ×3, first 2 shown]
	v_lshrrev_b32_e32 v10, 16, v85
	v_mul_f16_sdwa v5, v5, v66 dst_sel:DWORD dst_unused:UNUSED_PAD src0_sel:DWORD src1_sel:WORD_1
	v_fma_f16 v6, v84, v65, -v6
	v_add_f16_e32 v11, v10, v1
	v_sub_f16_e32 v12, v1, v9
	v_add_f16_e32 v1, v1, v9
	v_fma_f16 v5, v87, v66, -v5
	v_add_f16_e32 v11, v11, v9
	v_fma_f16 v1, v1, -0.5, v10
	v_add_f16_e32 v9, v85, v6
	v_add_f16_e32 v10, v6, v5
	;; [unrolled: 1-line block ×3, first 2 shown]
	v_sub_f16_e32 v5, v6, v5
	v_pack_b32_f16 v4, v8, v4
	v_fma_f16 v8, v10, -0.5, v85
	ds_write_b32 v184, v4 offset:216
	v_mad_legacy_u16 v4, v114, s2, v115
	v_pack_b32_f16 v6, v9, v11
	v_fma_f16 v9, v12, s0, v8
	v_fma_f16 v10, v5, s1, v1
	v_pack_b32_f16 v9, v9, v10
	v_lshlrev_b32_e32 v186, 2, v4
	ds_write2_b32 v186, v6, v9 offset1:27
	v_lshrrev_b32_e32 v4, 16, v88
	s_waitcnt vmcnt(1)
	v_mul_f16_sdwa v9, v88, v64 dst_sel:DWORD dst_unused:UNUSED_PAD src0_sel:DWORD src1_sel:WORD_1
	v_mul_f16_sdwa v6, v4, v64 dst_sel:DWORD dst_unused:UNUSED_PAD src0_sel:DWORD src1_sel:WORD_1
	v_fma_f16 v4, v4, v64, v9
	v_fma_f16 v1, v5, s0, v1
	v_lshrrev_b32_e32 v5, 16, v89
	v_mul_f16_sdwa v9, v89, v63 dst_sel:DWORD dst_unused:UNUSED_PAD src0_sel:DWORD src1_sel:WORD_1
	v_fma_f16 v9, v5, v63, v9
	v_mul_f16_sdwa v5, v5, v63 dst_sel:DWORD dst_unused:UNUSED_PAD src0_sel:DWORD src1_sel:WORD_1
	v_lshrrev_b32_e32 v11, 16, v86
	v_fma_f16 v6, v88, v64, -v6
	v_fma_f16 v5, v89, v63, -v5
	v_add_f16_e32 v13, v11, v9
	v_fma_f16 v8, v12, s1, v8
	v_add_f16_e32 v10, v5, v6
	v_add_f16_e32 v12, v86, v5
	;; [unrolled: 1-line block ×3, first 2 shown]
	v_sub_f16_e32 v14, v9, v4
	v_add_f16_e32 v4, v9, v4
	v_fma_f16 v10, v10, -0.5, v86
	v_fma_f16 v4, v4, -0.5, v11
	v_add_f16_e32 v9, v12, v6
	v_sub_f16_e32 v5, v5, v6
	v_pack_b32_f16 v1, v8, v1
	ds_write_b32 v186, v1 offset:216
	v_mad_legacy_u16 v1, v116, s2, v117
	v_pack_b32_f16 v6, v9, v13
	v_fma_f16 v8, v14, s0, v10
	v_fma_f16 v9, v5, s1, v4
	v_pack_b32_f16 v8, v8, v9
	v_lshlrev_b32_e32 v187, 2, v1
	ds_write2_b32 v187, v6, v8 offset1:27
	v_lshrrev_b32_e32 v1, 16, v90
	s_waitcnt vmcnt(0)
	v_mul_f16_sdwa v8, v90, v61 dst_sel:DWORD dst_unused:UNUSED_PAD src0_sel:DWORD src1_sel:WORD_1
	v_mul_f16_sdwa v6, v1, v61 dst_sel:DWORD dst_unused:UNUSED_PAD src0_sel:DWORD src1_sel:WORD_1
	v_fma_f16 v1, v1, v61, v8
	v_lshrrev_b32_e32 v8, 16, v120
	v_mul_f16_sdwa v9, v8, v62 dst_sel:DWORD dst_unused:UNUSED_PAD src0_sel:DWORD src1_sel:WORD_1
	v_mul_f16_sdwa v11, v120, v62 dst_sel:DWORD dst_unused:UNUSED_PAD src0_sel:DWORD src1_sel:WORD_1
	v_fma_f16 v6, v90, v61, -v6
	v_fma_f16 v9, v120, v62, -v9
	v_fma_f16 v8, v8, v62, v11
	v_lshrrev_b32_e32 v11, 16, v3
	v_fma_f16 v10, v14, s1, v10
	v_fma_f16 v4, v5, s0, v4
	v_add_f16_e32 v5, v6, v9
	v_add_f16_e32 v12, v11, v1
	v_sub_f16_e32 v13, v1, v8
	v_add_f16_e32 v1, v1, v8
	v_fma_f16 v5, v5, -0.5, v3
	v_add_f16_e32 v3, v3, v6
	v_fma_f16 v1, v1, -0.5, v11
	v_sub_f16_e32 v6, v6, v9
	v_pack_b32_f16 v4, v10, v4
	v_add_f16_e32 v12, v12, v8
	v_add_f16_e32 v3, v3, v9
	ds_write_b32 v187, v4 offset:216
	v_mad_legacy_u16 v4, v118, s2, v119
	v_fma_f16 v8, v13, s0, v5
	v_fma_f16 v9, v6, s1, v1
	v_pack_b32_f16 v3, v3, v12
	v_pack_b32_f16 v8, v8, v9
	v_lshlrev_b32_e32 v188, 2, v4
	ds_write2_b32 v188, v3, v8 offset1:27
	v_fma_f16 v3, v13, s1, v5
	v_fma_f16 v1, v6, s0, v1
	v_pack_b32_f16 v1, v3, v1
	ds_write_b32 v188, v1 offset:216
	v_lshlrev_b32_e32 v1, 3, v149
	s_waitcnt lgkmcnt(0)
	; wave barrier
	s_waitcnt lgkmcnt(0)
	global_load_dwordx2 v[71:72], v1, s[14:15] offset:312
	s_movk_i32 s2, 0xffee
	v_add_co_u32_e32 v1, vcc, s2, v149
	v_addc_co_u32_e64 v3, s[2:3], 0, -1, vcc
	v_cmp_gt_u16_e32 vcc, 18, v149
	s_movk_i32 s2, 0xcb
	v_cndmask_b32_e32 v4, v3, v80, vcc
	v_cndmask_b32_e32 v3, v1, v79, vcc
	v_mul_lo_u16_sdwa v1, v75, s2 dst_sel:DWORD dst_unused:UNUSED_PAD src0_sel:BYTE_0 src1_sel:DWORD
	v_lshrrev_b16_e32 v106, 14, v1
	v_lshlrev_b64 v[4:5], 3, v[3:4]
	v_mul_lo_u16_e32 v1, 0x51, v106
	s_movk_i32 s3, 0x6523
	v_sub_u16_e32 v79, v75, v1
	v_mul_u32_u24_sdwa v1, v76, s3 dst_sel:DWORD dst_unused:UNUSED_PAD src0_sel:WORD_0 src1_sel:DWORD
	v_add_co_u32_e32 v4, vcc, s14, v4
	v_lshrrev_b32_e32 v1, 21, v1
	v_addc_co_u32_e32 v5, vcc, v0, v5, vcc
	v_mul_lo_u16_e32 v1, 0x51, v1
	v_sub_u16_e32 v107, v76, v1
	global_load_dwordx2 v[75:76], v[4:5], off offset:312
	v_mul_u32_u24_sdwa v1, v77, s3 dst_sel:DWORD dst_unused:UNUSED_PAD src0_sel:WORD_0 src1_sel:DWORD
	v_lshrrev_b32_e32 v108, 21, v1
	v_mul_lo_u16_e32 v1, 0x51, v108
	v_sub_u16_e32 v109, v77, v1
	v_mul_lo_u16_sdwa v77, v73, s2 dst_sel:DWORD dst_unused:UNUSED_PAD src0_sel:BYTE_0 src1_sel:DWORD
	v_lshrrev_b16_e32 v116, 14, v77
	v_mul_u32_u24_sdwa v1, v78, s3 dst_sel:DWORD dst_unused:UNUSED_PAD src0_sel:WORD_0 src1_sel:DWORD
	v_mul_lo_u16_e32 v77, 0x51, v116
	v_lshrrev_b32_e32 v110, 21, v1
	v_and_b32_e32 v115, 0xff, v79
	v_sub_u16_e32 v77, v73, v77
	v_mul_lo_u16_e32 v1, 0x51, v110
	v_and_b32_e32 v117, 0xff, v77
	v_lshlrev_b32_e32 v77, 3, v115
	v_sub_u16_e32 v111, v78, v1
	ds_read2_b32 v[10:11], v96 offset0:120 offset1:183
	ds_read2_b32 v[14:15], v91 offset0:110 offset1:173
	v_lshlrev_b32_e32 v78, 3, v117
	global_load_dwordx2 v[85:86], v77, s[14:15] offset:312
	global_load_dwordx2 v[81:82], v78, s[14:15] offset:312
	v_mul_u32_u24_sdwa v1, v7, s3 dst_sel:DWORD dst_unused:UNUSED_PAD src0_sel:WORD_0 src1_sel:DWORD
	v_lshrrev_b32_e32 v112, 21, v1
	v_mul_lo_u16_e32 v1, 0x51, v112
	v_sub_u16_e32 v113, v7, v1
	v_mul_u32_u24_sdwa v1, v2, s3 dst_sel:DWORD dst_unused:UNUSED_PAD src0_sel:WORD_0 src1_sel:DWORD
	v_lshrrev_b32_e32 v1, 21, v1
	v_mul_lo_u16_e32 v1, 0x51, v1
	v_sub_u16_e32 v114, v2, v1
	v_lshlrev_b16_e32 v1, 3, v107
	v_add_co_u32_e32 v1, vcc, s14, v1
	v_addc_co_u32_e32 v2, vcc, 0, v0, vcc
	v_lshlrev_b16_e32 v6, 3, v109
	v_add_co_u32_e32 v4, vcc, s14, v6
	v_addc_co_u32_e32 v5, vcc, 0, v0, vcc
	;; [unrolled: 3-line block ×3, first 2 shown]
	v_lshlrev_b16_e32 v8, 3, v113
	v_add_co_u32_e32 v8, vcc, s14, v8
	ds_read2_b32 v[100:101], v123 offset1:63
	v_addc_co_u32_e32 v9, vcc, 0, v0, vcc
	v_lshlrev_b16_e32 v12, 3, v114
	v_add_co_u32_e32 v12, vcc, s14, v12
	v_addc_co_u32_e32 v13, vcc, 0, v0, vcc
	s_waitcnt lgkmcnt(2)
	v_lshrrev_b32_e32 v0, 16, v11
	s_waitcnt lgkmcnt(1)
	v_lshrrev_b32_e32 v78, 16, v14
	s_waitcnt vmcnt(3)
	v_mul_f16_sdwa v77, v11, v71 dst_sel:DWORD dst_unused:UNUSED_PAD src0_sel:DWORD src1_sel:WORD_1
	v_fma_f16 v77, v0, v71, v77
	v_mul_f16_sdwa v79, v14, v72 dst_sel:DWORD dst_unused:UNUSED_PAD src0_sel:DWORD src1_sel:WORD_1
	v_mul_f16_sdwa v0, v0, v71 dst_sel:DWORD dst_unused:UNUSED_PAD src0_sel:DWORD src1_sel:WORD_1
	v_fma_f16 v79, v78, v72, v79
	s_waitcnt lgkmcnt(0)
	v_lshrrev_b32_e32 v80, 16, v100
	v_fma_f16 v0, v11, v71, -v0
	v_mul_f16_sdwa v11, v78, v72 dst_sel:DWORD dst_unused:UNUSED_PAD src0_sel:DWORD src1_sel:WORD_1
	v_add_f16_e32 v83, v80, v77
	v_sub_f16_e32 v118, v77, v79
	v_add_f16_e32 v77, v77, v79
	v_fma_f16 v11, v14, v72, -v11
	v_add_f16_e32 v14, v100, v0
	v_add_f16_e32 v83, v83, v79
	v_fma_f16 v119, v77, -0.5, v80
	v_add_f16_e32 v14, v14, v11
	v_add_f16_e32 v77, v0, v11
	v_pack_b32_f16 v121, v14, v83
	v_fma_f16 v122, v77, -0.5, v100
	global_load_dwordx2 v[89:90], v[1:2], off offset:312
	global_load_dwordx2 v[87:88], v[4:5], off offset:312
	;; [unrolled: 1-line block ×5, first 2 shown]
	v_sub_f16_e32 v120, v0, v11
	v_fma_f16 v0, v118, s0, v122
	v_fma_f16 v11, v120, s1, v119
	v_pack_b32_f16 v189, v0, v11
	ds_read2_b32 v[0:1], v97 offset0:116 offset1:179
	ds_read2_b32 v[4:5], v98 offset0:124 offset1:187
	;; [unrolled: 1-line block ×3, first 2 shown]
	ds_read_b32 v2, v123 offset:6552
	ds_read2_b32 v[8:9], v74 offset0:118 offset1:181
	ds_read2_b32 v[11:12], v123 offset0:126 offset1:189
	ds_read2_b32 v[13:14], v94 offset0:108 offset1:171
	ds_read2_b32 v[97:98], v92 offset0:106 offset1:169
	ds_read2_b32 v[99:100], v93 offset0:114 offset1:177
	ds_read2_b32 v[102:103], v153 offset0:122 offset1:185
	ds_read2_b32 v[104:105], v95 offset0:112 offset1:175
	s_waitcnt lgkmcnt(0)
	; wave barrier
	s_waitcnt lgkmcnt(0)
	ds_write2_b32 v123, v121, v189 offset1:81
	v_mov_b32_e32 v121, 0xf3
	v_cmp_lt_u16_e32 vcc, 17, v149
	v_cndmask_b32_e32 v121, 0, v121, vcc
	v_add_lshl_u32 v189, v3, v121, 2
	v_lshrrev_b32_e32 v3, 16, v15
	s_waitcnt vmcnt(7)
	v_mul_f16_sdwa v121, v3, v76 dst_sel:DWORD dst_unused:UNUSED_PAD src0_sel:DWORD src1_sel:WORD_1
	v_fma_f16 v121, v15, v76, -v121
	v_mul_f16_sdwa v15, v15, v76 dst_sel:DWORD dst_unused:UNUSED_PAD src0_sel:DWORD src1_sel:WORD_1
	v_fma_f16 v3, v3, v76, v15
	v_fma_f16 v15, v118, s1, v122
	;; [unrolled: 1-line block ×3, first 2 shown]
	v_lshrrev_b32_e32 v119, 16, v8
	v_mul_f16_sdwa v120, v8, v75 dst_sel:DWORD dst_unused:UNUSED_PAD src0_sel:DWORD src1_sel:WORD_1
	v_fma_f16 v120, v119, v75, v120
	v_mul_f16_sdwa v119, v119, v75 dst_sel:DWORD dst_unused:UNUSED_PAD src0_sel:DWORD src1_sel:WORD_1
	v_fma_f16 v8, v8, v75, -v119
	v_lshrrev_b32_e32 v122, 16, v101
	v_add_f16_e32 v119, v8, v121
	v_add_f16_e32 v190, v122, v120
	v_fma_f16 v119, v119, -0.5, v101
	v_add_f16_e32 v101, v101, v8
	v_add_f16_e32 v190, v190, v3
	v_sub_f16_e32 v191, v120, v3
	v_add_f16_e32 v3, v120, v3
	v_fma_f16 v3, v3, -0.5, v122
	v_add_f16_e32 v101, v101, v121
	v_sub_f16_e32 v8, v8, v121
	v_pack_b32_f16 v15, v15, v118
	ds_write_b32 v123, v15 offset:648
	v_pack_b32_f16 v15, v101, v190
	v_fma_f16 v101, v191, s0, v119
	v_fma_f16 v118, v8, s1, v3
	v_pack_b32_f16 v101, v101, v118
	ds_write2_b32 v189, v15, v101 offset1:81
	v_lshrrev_b32_e32 v15, 16, v9
	s_waitcnt vmcnt(6)
	v_mul_f16_sdwa v101, v15, v85 dst_sel:DWORD dst_unused:UNUSED_PAD src0_sel:DWORD src1_sel:WORD_1
	v_fma_f16 v101, v9, v85, -v101
	v_mul_f16_sdwa v9, v9, v85 dst_sel:DWORD dst_unused:UNUSED_PAD src0_sel:DWORD src1_sel:WORD_1
	v_fma_f16 v3, v8, s0, v3
	v_lshrrev_b32_e32 v8, 16, v13
	v_mul_f16_sdwa v118, v13, v86 dst_sel:DWORD dst_unused:UNUSED_PAD src0_sel:DWORD src1_sel:WORD_1
	v_fma_f16 v9, v15, v85, v9
	v_fma_f16 v15, v191, s1, v119
	v_fma_f16 v118, v8, v86, v118
	v_lshrrev_b32_e32 v119, 16, v11
	v_mul_f16_sdwa v8, v8, v86 dst_sel:DWORD dst_unused:UNUSED_PAD src0_sel:DWORD src1_sel:WORD_1
	v_add_f16_e32 v120, v119, v9
	v_fma_f16 v8, v13, v86, -v8
	v_add_f16_e32 v120, v120, v118
	v_sub_f16_e32 v121, v9, v118
	v_add_f16_e32 v9, v9, v118
	v_add_f16_e32 v13, v11, v101
	;; [unrolled: 1-line block ×3, first 2 shown]
	v_pack_b32_f16 v3, v15, v3
	v_fma_f16 v9, v9, -0.5, v119
	v_add_f16_e32 v13, v13, v8
	v_sub_f16_e32 v8, v101, v8
	ds_write_b32 v189, v3 offset:648
	v_mul_u32_u24_e32 v3, 0xf3, v106
	v_fma_f16 v11, v118, -0.5, v11
	v_add_lshl_u32 v190, v3, v115, 2
	v_pack_b32_f16 v3, v13, v120
	v_fma_f16 v13, v121, s0, v11
	v_fma_f16 v15, v8, s1, v9
	v_pack_b32_f16 v13, v13, v15
	ds_write2_b32 v190, v3, v13 offset1:81
	v_lshrrev_b32_e32 v3, 16, v14
	s_waitcnt vmcnt(5)
	v_mul_f16_sdwa v13, v3, v82 dst_sel:DWORD dst_unused:UNUSED_PAD src0_sel:DWORD src1_sel:WORD_1
	v_fma_f16 v13, v14, v82, -v13
	v_mul_f16_sdwa v14, v14, v82 dst_sel:DWORD dst_unused:UNUSED_PAD src0_sel:DWORD src1_sel:WORD_1
	v_fma_f16 v3, v3, v82, v14
	v_fma_f16 v8, v8, s0, v9
	v_lshrrev_b32_e32 v9, 16, v0
	v_mul_f16_sdwa v14, v0, v81 dst_sel:DWORD dst_unused:UNUSED_PAD src0_sel:DWORD src1_sel:WORD_1
	v_fma_f16 v14, v9, v81, v14
	v_mul_f16_sdwa v9, v9, v81 dst_sel:DWORD dst_unused:UNUSED_PAD src0_sel:DWORD src1_sel:WORD_1
	v_fma_f16 v0, v0, v81, -v9
	v_lshrrev_b32_e32 v15, 16, v12
	v_fma_f16 v11, v121, s1, v11
	v_add_f16_e32 v9, v0, v13
	v_add_f16_e32 v101, v15, v14
	v_fma_f16 v9, v9, -0.5, v12
	v_add_f16_e32 v12, v12, v0
	v_add_f16_e32 v101, v101, v3
	v_sub_f16_e32 v106, v14, v3
	v_add_f16_e32 v3, v14, v3
	v_pack_b32_f16 v8, v11, v8
	v_fma_f16 v3, v3, -0.5, v15
	v_add_f16_e32 v12, v12, v13
	v_sub_f16_e32 v0, v0, v13
	ds_write_b32 v190, v8 offset:648
	v_mul_u32_u24_e32 v8, 0xf3, v116
	v_add_lshl_u32 v191, v8, v117, 2
	v_pack_b32_f16 v8, v12, v101
	v_fma_f16 v11, v106, s0, v9
	v_fma_f16 v12, v0, s1, v3
	v_pack_b32_f16 v11, v11, v12
	ds_write2_b32 v191, v8, v11 offset1:81
	v_lshrrev_b32_e32 v8, 16, v1
	s_waitcnt vmcnt(4)
	v_mul_f16_sdwa v11, v8, v89 dst_sel:DWORD dst_unused:UNUSED_PAD src0_sel:DWORD src1_sel:WORD_1
	v_fma_f16 v11, v1, v89, -v11
	v_mul_f16_sdwa v1, v1, v89 dst_sel:DWORD dst_unused:UNUSED_PAD src0_sel:DWORD src1_sel:WORD_1
	v_fma_f16 v1, v8, v89, v1
	v_fma_f16 v8, v106, s1, v9
	;; [unrolled: 1-line block ×3, first 2 shown]
	v_lshrrev_b32_e32 v3, 16, v97
	v_mul_f16_sdwa v9, v97, v90 dst_sel:DWORD dst_unused:UNUSED_PAD src0_sel:DWORD src1_sel:WORD_1
	v_fma_f16 v9, v3, v90, v9
	v_lshrrev_b32_e32 v12, 16, v4
	v_mul_f16_sdwa v3, v3, v90 dst_sel:DWORD dst_unused:UNUSED_PAD src0_sel:DWORD src1_sel:WORD_1
	v_add_f16_e32 v13, v12, v1
	v_sub_f16_e32 v14, v1, v9
	v_add_f16_e32 v1, v1, v9
	v_fma_f16 v3, v97, v90, -v3
	v_add_f16_e32 v13, v13, v9
	v_fma_f16 v1, v1, -0.5, v12
	v_add_f16_e32 v9, v4, v11
	v_add_f16_e32 v12, v11, v3
	;; [unrolled: 1-line block ×3, first 2 shown]
	v_sub_f16_e32 v3, v11, v3
	v_pack_b32_f16 v0, v8, v0
	v_fma_f16 v4, v12, -0.5, v4
	ds_write_b32 v191, v0 offset:648
	v_pack_b32_f16 v0, v9, v13
	v_fma_f16 v8, v14, s0, v4
	v_fma_f16 v9, v3, s1, v1
	v_lshlrev_b32_e32 v192, 2, v107
	v_pack_b32_f16 v8, v8, v9
	v_add_u32_e32 v9, 0xa00, v192
	ds_write2_b32 v9, v0, v8 offset0:89 offset1:170
	v_lshrrev_b32_e32 v0, 16, v98
	s_waitcnt vmcnt(3)
	v_mul_f16_sdwa v9, v98, v88 dst_sel:DWORD dst_unused:UNUSED_PAD src0_sel:DWORD src1_sel:WORD_1
	v_mul_f16_sdwa v8, v0, v88 dst_sel:DWORD dst_unused:UNUSED_PAD src0_sel:DWORD src1_sel:WORD_1
	v_fma_f16 v0, v0, v88, v9
	v_fma_f16 v1, v3, s0, v1
	v_lshrrev_b32_e32 v3, 16, v99
	v_mul_f16_sdwa v9, v99, v87 dst_sel:DWORD dst_unused:UNUSED_PAD src0_sel:DWORD src1_sel:WORD_1
	v_fma_f16 v9, v3, v87, v9
	v_mul_f16_sdwa v3, v3, v87 dst_sel:DWORD dst_unused:UNUSED_PAD src0_sel:DWORD src1_sel:WORD_1
	v_fma_f16 v8, v98, v88, -v8
	v_fma_f16 v3, v99, v87, -v3
	v_lshrrev_b32_e32 v12, 16, v5
	v_add_f16_e32 v11, v3, v8
	v_add_f16_e32 v13, v12, v9
	v_fma_f16 v4, v14, s1, v4
	v_fma_f16 v11, v11, -0.5, v5
	v_add_f16_e32 v5, v5, v3
	v_add_f16_e32 v13, v13, v0
	v_sub_f16_e32 v14, v9, v0
	v_add_f16_e32 v0, v9, v0
	v_fma_f16 v0, v0, -0.5, v12
	v_add_f16_e32 v5, v5, v8
	v_sub_f16_e32 v3, v3, v8
	v_pack_b32_f16 v1, v4, v1
	s_movk_i32 s2, 0xf3
	ds_write_b32 v192, v1 offset:3564
	v_mad_legacy_u16 v1, v108, s2, v109
	v_pack_b32_f16 v4, v5, v13
	v_fma_f16 v5, v14, s0, v11
	v_fma_f16 v8, v3, s1, v0
	v_pack_b32_f16 v5, v5, v8
	v_lshlrev_b32_e32 v193, 2, v1
	ds_write2_b32 v193, v4, v5 offset1:81
	v_lshrrev_b32_e32 v1, 16, v100
	s_waitcnt vmcnt(2)
	v_mul_f16_sdwa v5, v100, v83 dst_sel:DWORD dst_unused:UNUSED_PAD src0_sel:DWORD src1_sel:WORD_1
	v_fma_f16 v0, v3, s0, v0
	v_lshrrev_b32_e32 v3, 16, v6
	v_mul_f16_sdwa v8, v6, v84 dst_sel:DWORD dst_unused:UNUSED_PAD src0_sel:DWORD src1_sel:WORD_1
	v_mul_f16_sdwa v4, v1, v83 dst_sel:DWORD dst_unused:UNUSED_PAD src0_sel:DWORD src1_sel:WORD_1
	v_fma_f16 v1, v1, v83, v5
	v_fma_f16 v8, v3, v84, v8
	v_lshrrev_b32_e32 v9, 16, v102
	v_mul_f16_sdwa v3, v3, v84 dst_sel:DWORD dst_unused:UNUSED_PAD src0_sel:DWORD src1_sel:WORD_1
	v_fma_f16 v4, v100, v83, -v4
	v_fma_f16 v5, v14, s1, v11
	v_add_f16_e32 v11, v9, v1
	v_fma_f16 v3, v6, v84, -v3
	v_add_f16_e32 v11, v11, v8
	v_sub_f16_e32 v12, v1, v8
	v_add_f16_e32 v1, v1, v8
	v_add_f16_e32 v6, v102, v4
	;; [unrolled: 1-line block ×3, first 2 shown]
	v_fma_f16 v1, v1, -0.5, v9
	v_add_f16_e32 v6, v6, v3
	v_sub_f16_e32 v3, v4, v3
	v_pack_b32_f16 v0, v5, v0
	v_fma_f16 v5, v8, -0.5, v102
	ds_write_b32 v193, v0 offset:648
	v_mad_legacy_u16 v0, v110, s2, v111
	v_pack_b32_f16 v4, v6, v11
	v_fma_f16 v6, v12, s0, v5
	v_fma_f16 v8, v3, s1, v1
	v_pack_b32_f16 v6, v6, v8
	v_lshlrev_b32_e32 v194, 2, v0
	ds_write2_b32 v194, v4, v6 offset1:81
	v_lshrrev_b32_e32 v0, 16, v7
	s_waitcnt vmcnt(1)
	v_mul_f16_sdwa v6, v7, v80 dst_sel:DWORD dst_unused:UNUSED_PAD src0_sel:DWORD src1_sel:WORD_1
	v_mul_f16_sdwa v4, v0, v80 dst_sel:DWORD dst_unused:UNUSED_PAD src0_sel:DWORD src1_sel:WORD_1
	v_fma_f16 v0, v0, v80, v6
	v_fma_f16 v1, v3, s0, v1
	v_lshrrev_b32_e32 v3, 16, v104
	v_mul_f16_sdwa v6, v104, v79 dst_sel:DWORD dst_unused:UNUSED_PAD src0_sel:DWORD src1_sel:WORD_1
	v_fma_f16 v6, v3, v79, v6
	v_mul_f16_sdwa v3, v3, v79 dst_sel:DWORD dst_unused:UNUSED_PAD src0_sel:DWORD src1_sel:WORD_1
	v_lshrrev_b32_e32 v8, 16, v103
	v_fma_f16 v4, v7, v80, -v4
	v_fma_f16 v3, v104, v79, -v3
	v_add_f16_e32 v11, v8, v6
	v_fma_f16 v5, v12, s1, v5
	v_add_f16_e32 v7, v3, v4
	v_add_f16_e32 v197, v11, v0
	v_sub_f16_e32 v11, v6, v0
	v_add_f16_e32 v0, v6, v0
	v_fma_f16 v7, v7, -0.5, v103
	v_add_f16_e32 v9, v103, v3
	v_fma_f16 v0, v0, -0.5, v8
	v_pack_b32_f16 v1, v5, v1
	v_sub_f16_e32 v3, v3, v4
	ds_write_b32 v194, v1 offset:648
	v_mad_legacy_u16 v1, v112, s2, v113
	v_add_f16_e32 v97, v9, v4
	v_fma_f16 v98, v11, s0, v7
	v_fma_f16 v198, v3, s1, v0
	v_lshlrev_b32_e32 v195, 2, v1
	v_pack_b32_f16 v1, v97, v197
	v_pack_b32_f16 v4, v98, v198
	ds_write2_b32 v195, v1, v4 offset1:81
	v_lshrrev_b32_e32 v1, 16, v105
	s_waitcnt vmcnt(0)
	v_mul_f16_sdwa v5, v105, v77 dst_sel:DWORD dst_unused:UNUSED_PAD src0_sel:DWORD src1_sel:WORD_1
	v_mul_f16_sdwa v4, v1, v77 dst_sel:DWORD dst_unused:UNUSED_PAD src0_sel:DWORD src1_sel:WORD_1
	v_fma_f16 v1, v1, v77, v5
	v_lshrrev_b32_e32 v5, 16, v2
	v_mul_f16_sdwa v6, v5, v78 dst_sel:DWORD dst_unused:UNUSED_PAD src0_sel:DWORD src1_sel:WORD_1
	v_fma_f16 v4, v105, v77, -v4
	v_fma_f16 v6, v2, v78, -v6
	v_mul_f16_sdwa v2, v2, v78 dst_sel:DWORD dst_unused:UNUSED_PAD src0_sel:DWORD src1_sel:WORD_1
	v_fma_f16 v2, v5, v78, v2
	v_fma_f16 v199, v3, s0, v0
	v_lshrrev_b32_e32 v3, 16, v10
	v_add_f16_e32 v5, v10, v4
	v_add_f16_e32 v104, v5, v6
	;; [unrolled: 1-line block ×5, first 2 shown]
	v_sub_f16_e32 v5, v1, v2
	v_add_f16_e32 v1, v1, v2
	v_fma_f16 v0, v0, -0.5, v10
	v_fma_f16 v103, v11, s1, v7
	v_fma_f16 v1, v1, -0.5, v3
	v_sub_f16_e32 v2, v4, v6
	v_pack_b32_f16 v3, v103, v199
	v_lshlrev_b32_e32 v196, 2, v114
	v_fma_f16 v201, v2, s1, v1
	v_fma_f16 v105, v5, s0, v0
	;; [unrolled: 1-line block ×4, first 2 shown]
	ds_write_b32 v195, v3 offset:648
	v_pack_b32_f16 v3, v104, v200
	v_pack_b32_f16 v4, v105, v201
	v_add_u32_e32 v6, 0x1600, v196
	v_pack_b32_f16 v0, v106, v202
	ds_write2_b32 v6, v3, v4 offset0:50 offset1:131
	ds_write_b32 v196, v0 offset:6480
	s_waitcnt lgkmcnt(0)
	; wave barrier
	s_waitcnt lgkmcnt(0)
	ds_read2_b32 v[119:120], v96 offset0:102 offset1:165
	ds_read2_b32 v[109:110], v74 offset0:100 offset1:217
	;; [unrolled: 1-line block ×6, first 2 shown]
	ds_read_b32 v203, v123 offset:6336
	ds_read2_b32 v[101:102], v123 offset1:63
	ds_read2_b32 v[99:100], v123 offset0:126 offset1:243
	ds_read2_b32 v[121:122], v153 offset0:50 offset1:113
	;; [unrolled: 1-line block ×3, first 2 shown]
	s_load_dwordx2 s[2:3], s[4:5], 0x38
	v_cmp_gt_u16_e64 s[0:1], 54, v149
	s_and_saveexec_b64 s[4:5], s[0:1]
	s_cbranch_execz .LBB0_3
; %bb.2:
	v_add_u32_e32 v0, 0x2e0, v123
	ds_read2_b32 v[97:98], v0 offset0:5 offset1:248
	v_add_u32_e32 v0, 0xa80, v123
	ds_read2_b32 v[103:104], v0 offset0:3 offset1:246
	ds_read2_b32 v[105:106], v94 offset0:9 offset1:252
	ds_read_b32 v204, v123 offset:6588
	s_waitcnt lgkmcnt(0)
	v_lshrrev_b32_e32 v197, 16, v97
	v_lshrrev_b32_e32 v198, 16, v98
	;; [unrolled: 1-line block ×7, first 2 shown]
.LBB0_3:
	s_or_b64 exec, exec, s[4:5]
	v_mad_u64_u32 v[0:1], s[4:5], v149, 24, s[14:15]
	v_subrev_u32_e32 v2, 54, v149
	v_mov_b32_e32 v3, s15
	global_load_dwordx4 v[4:7], v[0:1], off offset:960
	global_load_dwordx2 v[91:92], v[0:1], off offset:976
	global_load_dwordx4 v[8:11], v[0:1], off offset:2472
	global_load_dwordx2 v[93:94], v[0:1], off offset:2488
	global_load_dwordx4 v[12:15], v[0:1], off offset:3984
	global_load_dwordx2 v[95:96], v[0:1], off offset:4000
	v_cndmask_b32_e64 v0, v2, v73, s[0:1]
	v_mul_hi_i32_i24_e32 v1, 24, v0
	v_mul_i32_i24_e32 v0, 24, v0
	v_add_co_u32_e32 v73, vcc, s14, v0
	v_addc_co_u32_e32 v74, vcc, v3, v1, vcc
	global_load_dwordx4 v[0:3], v[73:74], off offset:960
	s_waitcnt lgkmcnt(0)
	v_lshrrev_b32_e32 v206, 16, v100
	global_load_dwordx2 v[73:74], v[73:74], off offset:976
	v_lshrrev_b32_e32 v218, 16, v122
	v_lshrrev_b32_e32 v219, 16, v109
	;; [unrolled: 1-line block ×15, first 2 shown]
	s_movk_i32 s4, 0x2b26
	s_movk_i32 s6, 0x3b00
	s_mov_b32 s15, 0xbcab
	s_movk_i32 s7, 0x39e0
	s_mov_b32 s14, 0xb9e0
	;; [unrolled: 2-line block ×3, first 2 shown]
	v_lshrrev_b32_e32 v214, 16, v111
	v_lshrrev_b32_e32 v215, 16, v118
	s_movk_i32 s16, 0x370e
	s_mov_b32 s5, 0xb846
	s_waitcnt vmcnt(7)
	v_mul_f16_sdwa v224, v206, v4 dst_sel:DWORD dst_unused:UNUSED_PAD src0_sel:DWORD src1_sel:WORD_1
	v_mul_f16_sdwa v225, v100, v4 dst_sel:DWORD dst_unused:UNUSED_PAD src0_sel:DWORD src1_sel:WORD_1
	v_fma_f16 v100, v100, v4, -v224
	v_fma_f16 v206, v206, v4, v225
	s_waitcnt vmcnt(3)
	v_mul_f16_sdwa v248, v218, v12 dst_sel:DWORD dst_unused:UNUSED_PAD src0_sel:DWORD src1_sel:WORD_1
	v_fma_f16 v224, v122, v12, -v248
	v_mul_f16_sdwa v122, v122, v12 dst_sel:DWORD dst_unused:UNUSED_PAD src0_sel:DWORD src1_sel:WORD_1
	v_fma_f16 v122, v218, v12, v122
	v_mul_f16_sdwa v218, v219, v13 dst_sel:DWORD dst_unused:UNUSED_PAD src0_sel:DWORD src1_sel:WORD_1
	v_fma_f16 v218, v109, v13, -v218
	v_mul_f16_sdwa v109, v109, v13 dst_sel:DWORD dst_unused:UNUSED_PAD src0_sel:DWORD src1_sel:WORD_1
	v_fma_f16 v109, v219, v13, v109
	;; [unrolled: 4-line block ×4, first 2 shown]
	s_waitcnt vmcnt(2)
	v_mul_f16_sdwa v221, v222, v95 dst_sel:DWORD dst_unused:UNUSED_PAD src0_sel:DWORD src1_sel:WORD_1
	v_fma_f16 v221, v114, v95, -v221
	v_mul_f16_sdwa v114, v114, v95 dst_sel:DWORD dst_unused:UNUSED_PAD src0_sel:DWORD src1_sel:WORD_1
	v_fma_f16 v114, v222, v95, v114
	v_mul_f16_sdwa v222, v223, v96 dst_sel:DWORD dst_unused:UNUSED_PAD src0_sel:DWORD src1_sel:WORD_1
	v_fma_f16 v222, v203, v96, -v222
	v_mul_f16_sdwa v203, v203, v96 dst_sel:DWORD dst_unused:UNUSED_PAD src0_sel:DWORD src1_sel:WORD_1
	v_fma_f16 v203, v223, v96, v203
	s_waitcnt vmcnt(1)
	v_mul_f16_sdwa v223, v198, v0 dst_sel:DWORD dst_unused:UNUSED_PAD src0_sel:DWORD src1_sel:WORD_1
	v_fma_f16 v223, v98, v0, -v223
	v_mul_f16_sdwa v98, v98, v0 dst_sel:DWORD dst_unused:UNUSED_PAD src0_sel:DWORD src1_sel:WORD_1
	v_fma_f16 v98, v198, v0, v98
	v_mul_f16_sdwa v198, v199, v1 dst_sel:DWORD dst_unused:UNUSED_PAD src0_sel:DWORD src1_sel:WORD_1
	v_fma_f16 v198, v103, v1, -v198
	v_mul_f16_sdwa v103, v103, v1 dst_sel:DWORD dst_unused:UNUSED_PAD src0_sel:DWORD src1_sel:WORD_1
	v_fma_f16 v103, v199, v1, v103
	;; [unrolled: 4-line block ×4, first 2 shown]
	s_waitcnt vmcnt(0)
	v_mul_f16_sdwa v104, v202, v73 dst_sel:DWORD dst_unused:UNUSED_PAD src0_sel:DWORD src1_sel:WORD_1
	v_fma_f16 v201, v106, v73, -v104
	v_mul_f16_sdwa v104, v106, v73 dst_sel:DWORD dst_unused:UNUSED_PAD src0_sel:DWORD src1_sel:WORD_1
	v_mul_f16_sdwa v226, v207, v5 dst_sel:DWORD dst_unused:UNUSED_PAD src0_sel:DWORD src1_sel:WORD_1
	v_mul_f16_sdwa v227, v119, v5 dst_sel:DWORD dst_unused:UNUSED_PAD src0_sel:DWORD src1_sel:WORD_1
	v_mul_f16_sdwa v232, v210, v91 dst_sel:DWORD dst_unused:UNUSED_PAD src0_sel:DWORD src1_sel:WORD_1
	v_mul_f16_sdwa v233, v108, v91 dst_sel:DWORD dst_unused:UNUSED_PAD src0_sel:DWORD src1_sel:WORD_1
	v_mul_f16_sdwa v234, v211, v92 dst_sel:DWORD dst_unused:UNUSED_PAD src0_sel:DWORD src1_sel:WORD_1
	v_mul_f16_sdwa v235, v115, v92 dst_sel:DWORD dst_unused:UNUSED_PAD src0_sel:DWORD src1_sel:WORD_1
	v_fma_f16 v202, v202, v73, v104
	v_mul_f16_sdwa v104, v205, v74 dst_sel:DWORD dst_unused:UNUSED_PAD src0_sel:DWORD src1_sel:WORD_1
	v_mul_f16_sdwa v228, v208, v6 dst_sel:DWORD dst_unused:UNUSED_PAD src0_sel:DWORD src1_sel:WORD_1
	;; [unrolled: 1-line block ×5, first 2 shown]
	v_fma_f16 v119, v119, v5, -v226
	v_fma_f16 v207, v207, v5, v227
	v_fma_f16 v108, v108, v91, -v232
	v_fma_f16 v210, v210, v91, v233
	;; [unrolled: 2-line block ×3, first 2 shown]
	v_fma_f16 v106, v204, v74, -v104
	v_mul_f16_sdwa v104, v204, v74 dst_sel:DWORD dst_unused:UNUSED_PAD src0_sel:DWORD src1_sel:WORD_1
	v_fma_f16 v110, v110, v6, -v228
	v_fma_f16 v208, v208, v6, v229
	v_fma_f16 v117, v117, v7, -v230
	v_fma_f16 v209, v209, v7, v231
	v_fma_f16 v204, v205, v74, v104
	v_add_f16_e32 v104, v100, v115
	v_add_f16_e32 v205, v206, v211
	v_sub_f16_e32 v100, v100, v115
	v_sub_f16_e32 v115, v206, v211
	v_add_f16_e32 v206, v119, v108
	v_add_f16_e32 v211, v207, v210
	v_sub_f16_e32 v108, v119, v108
	v_sub_f16_e32 v119, v207, v210
	;; [unrolled: 4-line block ×4, first 2 shown]
	v_sub_f16_e32 v104, v104, v207
	v_sub_f16_e32 v205, v205, v210
	;; [unrolled: 1-line block ×4, first 2 shown]
	v_add_f16_e32 v228, v110, v108
	v_add_f16_e32 v229, v117, v119
	v_sub_f16_e32 v230, v110, v108
	v_sub_f16_e32 v231, v117, v119
	v_sub_f16_e32 v108, v108, v100
	v_sub_f16_e32 v119, v119, v115
	v_add_f16_e32 v207, v207, v208
	v_add_f16_e32 v208, v210, v209
	v_sub_f16_e32 v110, v100, v110
	v_sub_f16_e32 v117, v115, v117
	v_add_f16_e32 v100, v228, v100
	v_add_f16_e32 v115, v229, v115
	;; [unrolled: 1-line block ×3, first 2 shown]
	v_add_f16_sdwa v210, v101, v208 dst_sel:DWORD dst_unused:UNUSED_PAD src0_sel:WORD_1 src1_sel:DWORD
	v_mul_f16_e32 v101, 0x3a52, v104
	v_mul_f16_e32 v104, 0x3a52, v205
	;; [unrolled: 1-line block ×8, first 2 shown]
	v_mul_f16_sdwa v236, v212, v8 dst_sel:DWORD dst_unused:UNUSED_PAD src0_sel:DWORD src1_sel:WORD_1
	v_mul_f16_sdwa v237, v121, v8 dst_sel:DWORD dst_unused:UNUSED_PAD src0_sel:DWORD src1_sel:WORD_1
	;; [unrolled: 1-line block ×8, first 2 shown]
	v_fma_f16 v207, v207, s15, v209
	v_fma_f16 v208, v208, s15, v210
	;; [unrolled: 1-line block ×4, first 2 shown]
	v_fma_f16 v205, v226, s7, -v205
	v_fma_f16 v228, v227, s7, -v228
	v_fma_f16 v101, v226, s14, -v101
	v_fma_f16 v104, v227, s14, -v104
	v_fma_f16 v226, v110, s17, v229
	v_fma_f16 v227, v117, s17, v230
	v_fma_f16 v108, v108, s6, -v229
	v_fma_f16 v110, v110, s18, -v231
	;; [unrolled: 1-line block ×3, first 2 shown]
	v_mul_f16_sdwa v240, v214, v10 dst_sel:DWORD dst_unused:UNUSED_PAD src0_sel:DWORD src1_sel:WORD_1
	v_mul_f16_sdwa v241, v111, v10 dst_sel:DWORD dst_unused:UNUSED_PAD src0_sel:DWORD src1_sel:WORD_1
	;; [unrolled: 1-line block ×4, first 2 shown]
	v_fma_f16 v121, v121, v8, -v236
	v_fma_f16 v212, v212, v8, v237
	v_fma_f16 v120, v120, v9, -v238
	v_fma_f16 v213, v213, v9, v239
	v_fma_f16 v113, v113, v93, -v244
	v_fma_f16 v216, v216, v93, v245
	v_fma_f16 v116, v116, v94, -v246
	v_fma_f16 v217, v217, v94, v247
	v_fma_f16 v119, v119, s6, -v230
	v_add_f16_e32 v206, v206, v207
	v_add_f16_e32 v205, v205, v207
	;; [unrolled: 1-line block ×4, first 2 shown]
	v_fma_f16 v207, v100, s16, v226
	v_fma_f16 v108, v100, s16, v108
	;; [unrolled: 1-line block ×4, first 2 shown]
	v_fma_f16 v111, v111, v10, -v240
	v_fma_f16 v214, v214, v10, v241
	v_fma_f16 v118, v118, v11, -v242
	v_fma_f16 v215, v215, v11, v243
	v_add_f16_e32 v211, v211, v208
	v_add_f16_e32 v228, v228, v208
	v_fma_f16 v208, v115, s16, v227
	v_fma_f16 v119, v115, s16, v119
	v_add_f16_e32 v229, v110, v101
	v_sub_f16_e32 v230, v104, v100
	v_sub_f16_e32 v233, v101, v110
	v_add_f16_e32 v234, v100, v104
	v_add_f16_e32 v100, v121, v116
	;; [unrolled: 1-line block ×5, first 2 shown]
	v_sub_f16_e32 v231, v205, v119
	v_add_f16_e32 v232, v108, v228
	v_add_f16_e32 v205, v119, v205
	v_sub_f16_e32 v228, v228, v108
	v_sub_f16_e32 v104, v121, v116
	;; [unrolled: 1-line block ×5, first 2 shown]
	v_add_f16_e32 v117, v111, v118
	v_add_f16_e32 v119, v214, v215
	v_sub_f16_e32 v111, v118, v111
	v_sub_f16_e32 v118, v215, v214
	v_add_f16_e32 v120, v110, v100
	v_add_f16_e32 v121, v115, v101
	v_add_f16_e32 v226, v208, v206
	v_sub_f16_e32 v227, v211, v207
	v_sub_f16_e32 v206, v206, v208
	v_add_f16_e32 v207, v207, v211
	v_sub_f16_e32 v208, v110, v100
	v_sub_f16_e32 v211, v115, v101
	;; [unrolled: 1-line block ×6, first 2 shown]
	v_add_f16_e32 v212, v111, v113
	v_add_f16_e32 v213, v118, v116
	v_sub_f16_e32 v214, v111, v113
	v_sub_f16_e32 v215, v118, v116
	v_sub_f16_e32 v113, v113, v104
	v_sub_f16_e32 v116, v116, v108
	v_add_f16_e32 v117, v117, v120
	v_add_f16_e32 v119, v119, v121
	v_sub_f16_e32 v111, v104, v111
	v_sub_f16_e32 v118, v108, v118
	v_add_f16_e32 v104, v212, v104
	v_add_f16_e32 v108, v213, v108
	v_add_f16_e32 v212, v102, v117
	v_add_f16_sdwa v213, v102, v119 dst_sel:DWORD dst_unused:UNUSED_PAD src0_sel:WORD_1 src1_sel:DWORD
	v_mul_f16_e32 v100, 0x3a52, v100
	v_mul_f16_e32 v101, 0x3a52, v101
	;; [unrolled: 1-line block ×8, first 2 shown]
	v_fma_f16 v117, v117, s15, v212
	v_fma_f16 v119, v119, s15, v213
	;; [unrolled: 1-line block ×4, first 2 shown]
	v_fma_f16 v102, v208, s7, -v102
	v_fma_f16 v120, v211, s7, -v120
	;; [unrolled: 1-line block ×4, first 2 shown]
	v_fma_f16 v208, v111, s17, v121
	v_fma_f16 v211, v118, s17, v214
	v_fma_f16 v113, v113, s6, -v121
	v_fma_f16 v116, v116, s6, -v214
	;; [unrolled: 1-line block ×4, first 2 shown]
	v_add_f16_e32 v110, v110, v117
	v_add_f16_e32 v115, v115, v119
	v_add_f16_e32 v102, v102, v117
	v_add_f16_e32 v120, v120, v119
	v_add_f16_e32 v100, v100, v117
	v_add_f16_e32 v101, v101, v119
	v_fma_f16 v117, v104, s16, v208
	v_fma_f16 v119, v108, s16, v211
	;; [unrolled: 1-line block ×6, first 2 shown]
	v_add_f16_e32 v208, v119, v110
	v_add_f16_e32 v214, v108, v100
	v_sub_f16_e32 v215, v101, v104
	v_sub_f16_e32 v237, v100, v108
	v_add_f16_e32 v238, v104, v101
	v_sub_f16_e32 v239, v110, v119
	v_add_f16_e32 v100, v224, v222
	v_add_f16_e32 v101, v122, v203
	;; [unrolled: 1-line block ×4, first 2 shown]
	v_sub_f16_e32 v211, v115, v117
	v_sub_f16_e32 v216, v102, v116
	v_add_f16_e32 v217, v113, v120
	v_add_f16_e32 v235, v116, v102
	v_sub_f16_e32 v236, v120, v113
	v_add_f16_e32 v240, v117, v115
	v_sub_f16_e32 v102, v224, v222
	v_sub_f16_e32 v104, v122, v203
	;; [unrolled: 1-line block ×4, first 2 shown]
	v_add_f16_e32 v113, v219, v220
	v_add_f16_e32 v114, v112, v107
	v_sub_f16_e32 v115, v220, v219
	v_sub_f16_e32 v107, v107, v112
	v_add_f16_e32 v112, v108, v100
	v_add_f16_e32 v116, v110, v101
	v_sub_f16_e32 v117, v108, v100
	v_sub_f16_e32 v118, v110, v101
	;; [unrolled: 1-line block ×6, first 2 shown]
	v_add_f16_e32 v119, v115, v111
	v_add_f16_e32 v120, v107, v109
	v_sub_f16_e32 v121, v115, v111
	v_sub_f16_e32 v122, v107, v109
	;; [unrolled: 1-line block ×4, first 2 shown]
	v_add_f16_e32 v112, v113, v112
	v_add_f16_e32 v113, v114, v116
	v_sub_f16_e32 v115, v102, v115
	v_sub_f16_e32 v107, v104, v107
	v_add_f16_e32 v102, v119, v102
	v_add_f16_e32 v104, v120, v104
	;; [unrolled: 1-line block ×3, first 2 shown]
	v_add_f16_sdwa v218, v99, v113 dst_sel:DWORD dst_unused:UNUSED_PAD src0_sel:WORD_1 src1_sel:DWORD
	v_mul_f16_e32 v99, 0x3a52, v100
	v_mul_f16_e32 v100, 0x3a52, v101
	;; [unrolled: 1-line block ×8, first 2 shown]
	v_fma_f16 v112, v112, s15, v203
	v_fma_f16 v113, v113, s15, v218
	;; [unrolled: 1-line block ×4, first 2 shown]
	v_fma_f16 v101, v117, s7, -v101
	v_fma_f16 v114, v118, s7, -v114
	;; [unrolled: 1-line block ×4, first 2 shown]
	v_fma_f16 v117, v115, s17, v116
	v_fma_f16 v118, v107, s17, v119
	v_fma_f16 v111, v111, s6, -v116
	v_fma_f16 v109, v109, s6, -v119
	v_fma_f16 v115, v115, s18, -v120
	v_fma_f16 v107, v107, s18, -v121
	v_add_f16_e32 v108, v108, v112
	v_add_f16_e32 v110, v110, v113
	;; [unrolled: 1-line block ×6, first 2 shown]
	v_fma_f16 v112, v102, s16, v117
	v_fma_f16 v113, v104, s16, v118
	;; [unrolled: 1-line block ×6, first 2 shown]
	v_add_f16_e32 v221, v104, v99
	v_sub_f16_e32 v222, v100, v102
	v_sub_f16_e32 v244, v99, v104
	v_add_f16_e32 v245, v102, v100
	v_add_f16_e32 v99, v223, v106
	v_sub_f16_e32 v107, v223, v106
	v_add_f16_e32 v106, v103, v202
	v_sub_f16_e32 v102, v103, v202
	;; [unrolled: 2-line block ×3, first 2 shown]
	v_pack_b32_f16 v200, v226, v227
	ds_write_b32 v123, v200 offset:972
	v_pack_b32_f16 v200, v229, v230
	ds_write_b32 v123, v200 offset:1944
	v_pack_b32_f16 v200, v231, v232
	v_add_f16_e32 v104, v98, v204
	ds_write_b32 v123, v200 offset:2916
	v_pack_b32_f16 v200, v205, v228
	v_add_f16_e32 v241, v111, v114
	v_sub_f16_e32 v243, v114, v111
	v_add_f16_e32 v111, v106, v104
	ds_write_b32 v123, v200 offset:3888
	v_pack_b32_f16 v200, v233, v234
	v_sub_f16_e32 v100, v98, v204
	v_add_f16_e32 v111, v103, v111
	ds_write_b32 v123, v200 offset:4860
	v_pack_b32_f16 v200, v206, v207
	v_add_f16_e32 v115, v105, v102
	v_sub_f16_e32 v120, v105, v102
	v_sub_f16_e32 v116, v100, v105
	v_add_f16_e32 v105, v197, v111
	v_pack_b32_f16 v197, v209, v210
	ds_write_b32 v123, v200 offset:5832
	v_pack_b32_f16 v200, v212, v213
	ds_write2_b32 v123, v197, v200 offset1:63
	v_pack_b32_f16 v200, v214, v215
	ds_write_b32 v123, v200 offset:2196
	v_pack_b32_f16 v200, v216, v217
	ds_write_b32 v123, v200 offset:3168
	v_pack_b32_f16 v200, v235, v236
	ds_write_b32 v123, v200 offset:4140
	v_pack_b32_f16 v200, v237, v238
	ds_write_b32 v123, v200 offset:5112
	v_pack_b32_f16 v200, v239, v240
	v_add_f16_e32 v219, v113, v108
	v_sub_f16_e32 v220, v110, v112
	v_sub_f16_e32 v224, v101, v109
	v_add_f16_e32 v242, v109, v101
	v_add_f16_e32 v101, v198, v201
	ds_write_b32 v123, v200 offset:6084
	v_pack_b32_f16 v200, v203, v218
	v_sub_f16_e32 v246, v108, v113
	v_add_f16_e32 v247, v112, v110
	v_sub_f16_e32 v108, v198, v201
	v_add_f16_e32 v98, v199, v225
	;; [unrolled: 2-line block ×3, first 2 shown]
	v_pack_b32_f16 v197, v208, v211
	ds_write_b32 v123, v200 offset:504
	v_pack_b32_f16 v200, v219, v220
	v_sub_f16_e32 v112, v99, v98
	v_sub_f16_e32 v113, v104, v103
	;; [unrolled: 1-line block ×3, first 2 shown]
	v_add_f16_e32 v114, v109, v108
	v_sub_f16_e32 v119, v109, v108
	v_sub_f16_e32 v109, v107, v109
	v_add_f16_e32 v98, v98, v110
	ds_write2_b32 v153, v197, v200 offset0:50 offset1:113
	v_pack_b32_f16 v153, v221, v222
	v_sub_f16_e32 v118, v103, v106
	v_add_f16_e32 v199, v115, v100
	v_add_f16_e32 v103, v97, v98
	v_mul_f16_e32 v115, 0x3a52, v112
	v_mul_f16_e32 v121, 0x3a52, v113
	;; [unrolled: 1-line block ×4, first 2 shown]
	ds_write_b32 v123, v153 offset:2448
	v_pack_b32_f16 v153, v224, v241
	v_add_f16_e32 v198, v114, v107
	v_fma_f16 v110, v98, s15, v103
	v_fma_f16 v114, v111, s15, v105
	v_fma_f16 v97, v117, s4, v115
	v_fma_f16 v98, v118, s4, v121
	v_fma_f16 v112, v119, s5, v122
	v_fma_f16 v113, v120, s5, v116
	ds_write_b32 v123, v153 offset:3420
	v_pack_b32_f16 v153, v242, v243
	v_add_f16_e32 v109, v97, v110
	v_add_f16_e32 v111, v98, v114
	v_fma_f16 v112, v198, s16, v112
	v_fma_f16 v113, v199, s16, v113
	ds_write_b32 v123, v153 offset:4392
	v_pack_b32_f16 v153, v244, v245
	v_sub_f16_e32 v97, v109, v113
	v_add_f16_e32 v98, v112, v111
	ds_write_b32 v123, v153 offset:5364
	v_pack_b32_f16 v153, v246, v247
	ds_write_b32 v123, v153 offset:6336
	s_and_saveexec_b64 s[4:5], s[0:1]
	s_cbranch_execz .LBB0_5
; %bb.4:
	v_mul_f16_e32 v117, 0x2b26, v117
	v_mul_f16_e32 v118, 0x2b26, v118
	;; [unrolled: 1-line block ×4, first 2 shown]
	v_sub_f16_e32 v107, v108, v107
	s_mov_b32 s15, 0xbb00
	v_sub_f16_e32 v104, v106, v104
	v_sub_f16_e32 v99, v101, v99
	;; [unrolled: 1-line block ×3, first 2 shown]
	v_mul_f16_e32 v153, 0x370e, v198
	v_mul_f16_e32 v197, 0x370e, v199
	v_fma_f16 v108, v107, s15, -v122
	v_fma_f16 v106, v104, s14, -v121
	;; [unrolled: 1-line block ×8, first 2 shown]
	v_add_f16_e32 v108, v153, v108
	v_add_f16_e32 v106, v106, v114
	;; [unrolled: 1-line block ×9, first 2 shown]
	v_sub_f16_e32 v115, v101, v102
	v_sub_f16_e32 v114, v104, v107
	v_add_f16_e32 v110, v100, v99
	v_add_f16_e32 v104, v107, v104
	v_sub_f16_e32 v99, v99, v100
	v_sub_f16_e32 v100, v106, v108
	v_add_f16_e32 v101, v102, v101
	v_sub_f16_e32 v102, v111, v112
	v_add_f16_e32 v106, v113, v109
	s_mov_b32 s6, 0x5040100
	v_perm_b32 v103, v105, v103, s6
	v_pack_b32_f16 v102, v106, v102
	v_add_u32_e32 v105, 0x2e0, v123
	v_pack_b32_f16 v100, v101, v100
	v_pack_b32_f16 v99, v99, v104
	v_add_u32_e32 v101, 0xa80, v123
	ds_write2_b32 v105, v103, v102 offset0:5 offset1:248
	ds_write2_b32 v101, v100, v99 offset0:3 offset1:246
	v_pack_b32_f16 v99, v110, v114
	v_pack_b32_f16 v100, v115, v121
	v_add_u32_e32 v101, 0x1200, v123
	ds_write2_b32 v101, v99, v100 offset0:9 offset1:252
	v_perm_b32 v99, v98, v97, s6
	ds_write_b32 v123, v99 offset:6588
.LBB0_5:
	s_or_b64 exec, exec, s[4:5]
	v_lshlrev_b32_e32 v99, 2, v149
	v_mov_b32_e32 v100, s13
	v_add_co_u32_e32 v109, vcc, s12, v99
	v_addc_co_u32_e32 v110, vcc, 0, v100, vcc
	v_add_co_u32_e32 v103, vcc, 0x1a94, v109
	v_addc_co_u32_e32 v104, vcc, 0, v110, vcc
	v_add_co_u32_e32 v99, vcc, 0x1000, v109
	s_waitcnt lgkmcnt(0)
	; wave barrier
	s_waitcnt lgkmcnt(0)
	global_load_dword v111, v[103:104], off offset:252
	v_addc_co_u32_e32 v100, vcc, 0, v110, vcc
	global_load_dword v99, v[99:100], off offset:2708
	s_nop 0
	global_load_dword v113, v[103:104], off offset:2268
	s_movk_i32 s4, 0x2000
	v_add_co_u32_e32 v105, vcc, s4, v109
	v_addc_co_u32_e32 v106, vcc, 0, v110, vcc
	global_load_dword v114, v[105:106], off offset:3148
	global_load_dword v115, v[103:104], off offset:2520
	;; [unrolled: 1-line block ×6, first 2 shown]
	s_movk_i32 s4, 0x3000
	v_add_co_u32_e32 v109, vcc, s4, v109
	ds_read2_b32 v[107:108], v123 offset1:63
	v_addc_co_u32_e32 v110, vcc, 0, v110, vcc
	global_load_dword v120, v[103:104], off offset:756
	global_load_dword v121, v[105:106], off offset:3904
	;; [unrolled: 1-line block ×15, first 2 shown]
	s_waitcnt lgkmcnt(0)
	v_lshrrev_b32_e32 v103, 16, v107
	v_lshrrev_b32_e32 v104, 16, v108
	v_add_u32_e32 v101, 0x600, v123
	v_add_u32_e32 v100, 0x1000, v123
	;; [unrolled: 1-line block ×3, first 2 shown]
	s_movk_i32 s4, 0x3aee
	s_mov_b32 s5, 0xffff
	s_waitcnt vmcnt(23)
	v_mul_f16_sdwa v106, v108, v111 dst_sel:DWORD dst_unused:UNUSED_PAD src0_sel:DWORD src1_sel:WORD_1
	v_mul_f16_sdwa v105, v104, v111 dst_sel:DWORD dst_unused:UNUSED_PAD src0_sel:DWORD src1_sel:WORD_1
	s_waitcnt vmcnt(22)
	v_mul_f16_sdwa v112, v103, v99 dst_sel:DWORD dst_unused:UNUSED_PAD src0_sel:DWORD src1_sel:WORD_1
	v_mul_f16_sdwa v208, v107, v99 dst_sel:DWORD dst_unused:UNUSED_PAD src0_sel:DWORD src1_sel:WORD_1
	v_fma_f16 v104, v104, v111, v106
	v_fma_f16 v106, v107, v99, -v112
	v_fma_f16 v99, v103, v99, v208
	v_pack_b32_f16 v99, v106, v99
	ds_write_b32 v123, v99
	v_fma_f16 v105, v108, v111, -v105
	ds_read2_b32 v[111:112], v101 offset0:120 offset1:183
	v_pack_b32_f16 v99, v105, v104
	ds_read2_b32 v[103:104], v100 offset0:110 offset1:173
	ds_read2_b32 v[105:106], v102 offset0:118 offset1:181
	;; [unrolled: 1-line block ×3, first 2 shown]
	s_waitcnt lgkmcnt(3)
	v_lshrrev_b32_e32 v208, 16, v112
	s_waitcnt vmcnt(21)
	v_mul_f16_sdwa v209, v112, v113 dst_sel:DWORD dst_unused:UNUSED_PAD src0_sel:DWORD src1_sel:WORD_1
	s_waitcnt lgkmcnt(2)
	v_lshrrev_b32_e32 v210, 16, v103
	s_waitcnt vmcnt(20)
	v_mul_f16_sdwa v211, v103, v114 dst_sel:DWORD dst_unused:UNUSED_PAD src0_sel:DWORD src1_sel:WORD_1
	;; [unrolled: 4-line block ×3, first 2 shown]
	v_lshrrev_b32_e32 v214, 16, v104
	s_waitcnt vmcnt(18)
	v_mul_f16_sdwa v215, v104, v116 dst_sel:DWORD dst_unused:UNUSED_PAD src0_sel:DWORD src1_sel:WORD_1
	v_mul_f16_sdwa v217, v208, v113 dst_sel:DWORD dst_unused:UNUSED_PAD src0_sel:DWORD src1_sel:WORD_1
	v_fma_f16 v208, v208, v113, v209
	v_mul_f16_sdwa v209, v210, v114 dst_sel:DWORD dst_unused:UNUSED_PAD src0_sel:DWORD src1_sel:WORD_1
	v_fma_f16 v210, v210, v114, v211
	;; [unrolled: 2-line block ×4, first 2 shown]
	v_fma_f16 v104, v104, v116, -v213
	global_load_dword v116, v[109:110], off offset:564
	v_fma_f16 v112, v112, v113, -v217
	v_fma_f16 v103, v103, v114, -v209
	;; [unrolled: 1-line block ×3, first 2 shown]
	s_waitcnt lgkmcnt(0)
	v_lshrrev_b32_e32 v216, 16, v107
	v_pack_b32_f16 v112, v112, v208
	v_pack_b32_f16 v208, v103, v210
	;; [unrolled: 1-line block ×4, first 2 shown]
	ds_write2_b32 v102, v112, v103 offset0:55 offset1:118
	s_waitcnt vmcnt(18)
	v_mul_f16_sdwa v103, v216, v117 dst_sel:DWORD dst_unused:UNUSED_PAD src0_sel:DWORD src1_sel:WORD_1
	v_mul_f16_sdwa v104, v107, v117 dst_sel:DWORD dst_unused:UNUSED_PAD src0_sel:DWORD src1_sel:WORD_1
	v_fma_f16 v103, v107, v117, -v103
	v_fma_f16 v104, v216, v117, v104
	v_pack_b32_f16 v103, v103, v104
	ds_write2_b32 v123, v99, v103 offset0:63 offset1:126
	v_add_u32_e32 v103, 0x1200, v123
	ds_read2_b32 v[104:105], v103 offset0:108 offset1:171
	v_lshrrev_b32_e32 v99, 16, v106
	s_waitcnt vmcnt(17)
	v_mul_f16_sdwa v107, v99, v118 dst_sel:DWORD dst_unused:UNUSED_PAD src0_sel:DWORD src1_sel:WORD_1
	v_fma_f16 v107, v106, v118, -v107
	v_mul_f16_sdwa v106, v106, v118 dst_sel:DWORD dst_unused:UNUSED_PAD src0_sel:DWORD src1_sel:WORD_1
	v_fma_f16 v99, v99, v118, v106
	global_load_dword v118, v[109:110], off offset:816
	s_waitcnt lgkmcnt(0)
	v_lshrrev_b32_e32 v106, 16, v104
	v_pack_b32_f16 v99, v107, v99
	s_waitcnt vmcnt(17)
	v_mul_f16_sdwa v107, v106, v119 dst_sel:DWORD dst_unused:UNUSED_PAD src0_sel:DWORD src1_sel:WORD_1
	v_fma_f16 v107, v104, v119, -v107
	v_mul_f16_sdwa v104, v104, v119 dst_sel:DWORD dst_unused:UNUSED_PAD src0_sel:DWORD src1_sel:WORD_1
	v_fma_f16 v104, v106, v119, v104
	global_load_dword v119, v[109:110], off offset:1068
	v_pack_b32_f16 v104, v107, v104
	v_add_u32_e32 v107, 0xa00, v123
	ds_write2_b32 v100, v113, v104 offset0:173 offset1:236
	ds_read2_b32 v[112:113], v107 offset0:116 offset1:179
	v_lshrrev_b32_e32 v104, 16, v108
	s_waitcnt vmcnt(17)
	v_mul_f16_sdwa v106, v104, v120 dst_sel:DWORD dst_unused:UNUSED_PAD src0_sel:DWORD src1_sel:WORD_1
	v_fma_f16 v106, v108, v120, -v106
	v_mul_f16_sdwa v108, v108, v120 dst_sel:DWORD dst_unused:UNUSED_PAD src0_sel:DWORD src1_sel:WORD_1
	v_fma_f16 v104, v104, v120, v108
	v_pack_b32_f16 v104, v106, v104
	s_waitcnt lgkmcnt(0)
	v_lshrrev_b32_e32 v106, 16, v112
	s_waitcnt vmcnt(13)
	v_mul_f16_sdwa v108, v106, v197 dst_sel:DWORD dst_unused:UNUSED_PAD src0_sel:DWORD src1_sel:WORD_1
	v_fma_f16 v108, v112, v197, -v108
	v_mul_f16_sdwa v112, v112, v197 dst_sel:DWORD dst_unused:UNUSED_PAD src0_sel:DWORD src1_sel:WORD_1
	v_fma_f16 v106, v106, v197, v112
	v_pack_b32_f16 v106, v108, v106
	v_add_u32_e32 v108, 0x200, v123
	ds_read2_b32 v[114:115], v108 offset0:124 offset1:187
	ds_write2_b32 v102, v99, v106 offset0:181 offset1:244
	v_lshrrev_b32_e32 v99, 16, v105
	v_mul_f16_sdwa v106, v99, v121 dst_sel:DWORD dst_unused:UNUSED_PAD src0_sel:DWORD src1_sel:WORD_1
	v_fma_f16 v106, v105, v121, -v106
	v_mul_f16_sdwa v105, v105, v121 dst_sel:DWORD dst_unused:UNUSED_PAD src0_sel:DWORD src1_sel:WORD_1
	v_fma_f16 v99, v99, v121, v105
	s_waitcnt lgkmcnt(1)
	v_lshrrev_b32_e32 v105, 16, v114
	v_pack_b32_f16 v99, v106, v99
	s_waitcnt vmcnt(8)
	v_mul_f16_sdwa v106, v105, v202 dst_sel:DWORD dst_unused:UNUSED_PAD src0_sel:DWORD src1_sel:WORD_1
	v_mul_f16_sdwa v112, v114, v202 dst_sel:DWORD dst_unused:UNUSED_PAD src0_sel:DWORD src1_sel:WORD_1
	v_fma_f16 v106, v114, v202, -v106
	v_fma_f16 v105, v105, v202, v112
	v_pack_b32_f16 v105, v106, v105
	ds_write2_b32 v123, v104, v105 offset0:189 offset1:252
	v_add_u32_e32 v104, 0x1400, v123
	ds_read2_b32 v[105:106], v104 offset0:106 offset1:169
	v_lshrrev_b32_e32 v112, 16, v113
	v_mul_f16_sdwa v114, v112, v198 dst_sel:DWORD dst_unused:UNUSED_PAD src0_sel:DWORD src1_sel:WORD_1
	v_fma_f16 v114, v113, v198, -v114
	v_mul_f16_sdwa v113, v113, v198 dst_sel:DWORD dst_unused:UNUSED_PAD src0_sel:DWORD src1_sel:WORD_1
	v_fma_f16 v112, v112, v198, v113
	s_waitcnt lgkmcnt(0)
	v_lshrrev_b32_e32 v113, 16, v105
	v_pack_b32_f16 v112, v114, v112
	v_mul_f16_sdwa v114, v113, v122 dst_sel:DWORD dst_unused:UNUSED_PAD src0_sel:DWORD src1_sel:WORD_1
	v_fma_f16 v114, v105, v122, -v114
	v_mul_f16_sdwa v105, v105, v122 dst_sel:DWORD dst_unused:UNUSED_PAD src0_sel:DWORD src1_sel:WORD_1
	v_fma_f16 v105, v113, v122, v105
	v_pack_b32_f16 v105, v114, v105
	ds_write2_b32 v104, v99, v105 offset0:43 offset1:106
	v_add_u32_e32 v105, 0xc00, v123
	ds_read2_b32 v[109:110], v105 offset0:114 offset1:177
	v_lshrrev_b32_e32 v99, 16, v115
	s_waitcnt vmcnt(7)
	v_mul_f16_sdwa v113, v99, v203 dst_sel:DWORD dst_unused:UNUSED_PAD src0_sel:DWORD src1_sel:WORD_1
	v_mul_f16_sdwa v114, v115, v203 dst_sel:DWORD dst_unused:UNUSED_PAD src0_sel:DWORD src1_sel:WORD_1
	v_fma_f16 v113, v115, v203, -v113
	v_fma_f16 v99, v99, v203, v114
	v_pack_b32_f16 v114, v113, v99
	s_waitcnt lgkmcnt(0)
	v_lshrrev_b32_e32 v99, 16, v109
	v_mul_f16_sdwa v113, v99, v199 dst_sel:DWORD dst_unused:UNUSED_PAD src0_sel:DWORD src1_sel:WORD_1
	v_fma_f16 v113, v109, v199, -v113
	v_mul_f16_sdwa v109, v109, v199 dst_sel:DWORD dst_unused:UNUSED_PAD src0_sel:DWORD src1_sel:WORD_1
	v_fma_f16 v99, v99, v199, v109
	v_pack_b32_f16 v99, v113, v99
	ds_write2_b32 v105, v112, v99 offset0:51 offset1:114
	v_add_u32_e32 v99, 0x400, v123
	ds_read2_b32 v[112:113], v99 offset0:122 offset1:185
	v_lshrrev_b32_e32 v109, 16, v106
	v_mul_f16_sdwa v115, v109, v153 dst_sel:DWORD dst_unused:UNUSED_PAD src0_sel:DWORD src1_sel:WORD_1
	v_fma_f16 v115, v106, v153, -v115
	v_mul_f16_sdwa v106, v106, v153 dst_sel:DWORD dst_unused:UNUSED_PAD src0_sel:DWORD src1_sel:WORD_1
	v_fma_f16 v106, v109, v153, v106
	s_waitcnt lgkmcnt(0)
	v_lshrrev_b32_e32 v109, 16, v112
	v_pack_b32_f16 v106, v115, v106
	s_waitcnt vmcnt(6)
	v_mul_f16_sdwa v115, v109, v204 dst_sel:DWORD dst_unused:UNUSED_PAD src0_sel:DWORD src1_sel:WORD_1
	v_fma_f16 v115, v112, v204, -v115
	v_mul_f16_sdwa v112, v112, v204 dst_sel:DWORD dst_unused:UNUSED_PAD src0_sel:DWORD src1_sel:WORD_1
	v_fma_f16 v109, v109, v204, v112
	v_pack_b32_f16 v109, v115, v109
	ds_write2_b32 v99, v114, v109 offset0:59 offset1:122
	v_add_u32_e32 v109, 0x1600, v123
	ds_read2_b32 v[114:115], v109 offset0:104 offset1:167
	v_lshrrev_b32_e32 v112, 16, v110
	v_mul_f16_sdwa v117, v112, v200 dst_sel:DWORD dst_unused:UNUSED_PAD src0_sel:DWORD src1_sel:WORD_1
	v_fma_f16 v117, v110, v200, -v117
	v_mul_f16_sdwa v110, v110, v200 dst_sel:DWORD dst_unused:UNUSED_PAD src0_sel:DWORD src1_sel:WORD_1
	v_fma_f16 v110, v112, v200, v110
	s_waitcnt lgkmcnt(0)
	v_lshrrev_b32_e32 v112, 16, v114
	v_pack_b32_f16 v110, v117, v110
	s_waitcnt vmcnt(2)
	v_mul_f16_sdwa v117, v112, v116 dst_sel:DWORD dst_unused:UNUSED_PAD src0_sel:DWORD src1_sel:WORD_1
	v_fma_f16 v117, v114, v116, -v117
	v_mul_f16_sdwa v114, v114, v116 dst_sel:DWORD dst_unused:UNUSED_PAD src0_sel:DWORD src1_sel:WORD_1
	v_fma_f16 v112, v112, v116, v114
	v_pack_b32_f16 v112, v117, v112
	ds_write2_b32 v104, v106, v112 offset0:169 offset1:232
	v_add_u32_e32 v106, 0xe00, v123
	ds_read2_b32 v[116:117], v106 offset0:112 offset1:175
	v_lshrrev_b32_e32 v112, 16, v113
	v_mul_f16_sdwa v114, v112, v205 dst_sel:DWORD dst_unused:UNUSED_PAD src0_sel:DWORD src1_sel:WORD_1
	v_fma_f16 v114, v113, v205, -v114
	v_mul_f16_sdwa v113, v113, v205 dst_sel:DWORD dst_unused:UNUSED_PAD src0_sel:DWORD src1_sel:WORD_1
	v_fma_f16 v112, v112, v205, v113
	s_waitcnt lgkmcnt(0)
	v_lshrrev_b32_e32 v113, 16, v116
	v_pack_b32_f16 v112, v114, v112
	v_mul_f16_sdwa v114, v113, v201 dst_sel:DWORD dst_unused:UNUSED_PAD src0_sel:DWORD src1_sel:WORD_1
	v_fma_f16 v114, v116, v201, -v114
	v_mul_f16_sdwa v116, v116, v201 dst_sel:DWORD dst_unused:UNUSED_PAD src0_sel:DWORD src1_sel:WORD_1
	v_fma_f16 v113, v113, v201, v116
	v_pack_b32_f16 v113, v114, v113
	ds_write2_b32 v105, v110, v113 offset0:177 offset1:240
	v_lshrrev_b32_e32 v110, 16, v115
	s_waitcnt vmcnt(1)
	v_mul_f16_sdwa v113, v110, v118 dst_sel:DWORD dst_unused:UNUSED_PAD src0_sel:DWORD src1_sel:WORD_1
	v_mul_f16_sdwa v114, v115, v118 dst_sel:DWORD dst_unused:UNUSED_PAD src0_sel:DWORD src1_sel:WORD_1
	v_fma_f16 v113, v115, v118, -v113
	v_fma_f16 v110, v110, v118, v114
	v_pack_b32_f16 v110, v113, v110
	v_lshrrev_b32_e32 v113, 16, v111
	v_mul_f16_sdwa v114, v113, v206 dst_sel:DWORD dst_unused:UNUSED_PAD src0_sel:DWORD src1_sel:WORD_1
	v_fma_f16 v114, v111, v206, -v114
	v_mul_f16_sdwa v111, v111, v206 dst_sel:DWORD dst_unused:UNUSED_PAD src0_sel:DWORD src1_sel:WORD_1
	v_fma_f16 v111, v113, v206, v111
	v_pack_b32_f16 v111, v114, v111
	ds_read_b32 v113, v123 offset:6552
	ds_write2_b32 v99, v112, v111 offset0:185 offset1:248
	v_lshrrev_b32_e32 v111, 16, v117
	v_mul_f16_sdwa v112, v111, v207 dst_sel:DWORD dst_unused:UNUSED_PAD src0_sel:DWORD src1_sel:WORD_1
	v_mul_f16_sdwa v114, v117, v207 dst_sel:DWORD dst_unused:UNUSED_PAD src0_sel:DWORD src1_sel:WORD_1
	v_fma_f16 v112, v117, v207, -v112
	v_fma_f16 v111, v111, v207, v114
	v_pack_b32_f16 v111, v112, v111
	ds_write2_b32 v100, v111, v208 offset0:47 offset1:110
	s_waitcnt lgkmcnt(2)
	v_lshrrev_b32_e32 v111, 16, v113
	s_waitcnt vmcnt(0)
	v_mul_f16_sdwa v112, v111, v119 dst_sel:DWORD dst_unused:UNUSED_PAD src0_sel:DWORD src1_sel:WORD_1
	v_fma_f16 v112, v113, v119, -v112
	v_mul_f16_sdwa v113, v113, v119 dst_sel:DWORD dst_unused:UNUSED_PAD src0_sel:DWORD src1_sel:WORD_1
	v_fma_f16 v111, v111, v119, v113
	v_pack_b32_f16 v111, v112, v111
	v_add_u32_e32 v112, 0x1800, v123
	ds_write2_b32 v112, v110, v111 offset0:39 offset1:102
	s_waitcnt lgkmcnt(0)
	; wave barrier
	s_waitcnt lgkmcnt(0)
	ds_read2_b32 v[110:111], v123 offset1:63
	ds_read2_b32 v[112:113], v102 offset0:118 offset1:181
	ds_read2_b32 v[114:115], v100 offset0:110 offset1:173
	s_waitcnt lgkmcnt(1)
	v_pk_add_f16 v116, v111, v112
	s_waitcnt lgkmcnt(0)
	v_pk_add_f16 v119, v116, v115
	v_pk_add_f16 v116, v112, v115
	v_pk_add_f16 v112, v112, v115 neg_lo:[0,1] neg_hi:[0,1]
	v_pk_fma_f16 v111, v116, 0.5, v111 op_sel_hi:[1,0,1] neg_lo:[1,0,0] neg_hi:[1,0,0]
	v_pk_mul_f16 v112, v112, s4 op_sel_hi:[1,0]
	v_pk_add_f16 v117, v111, v112 op_sel:[0,1] op_sel_hi:[1,0] neg_lo:[0,1] neg_hi:[0,1]
	v_pk_add_f16 v118, v111, v112 op_sel:[0,1] op_sel_hi:[1,0]
	ds_read2_b32 v[111:112], v123 offset0:126 offset1:189
	ds_read2_b32 v[115:116], v103 offset0:108 offset1:171
	v_bfi_b32 v120, s5, v117, v118
	v_bfi_b32 v121, s5, v118, v117
	s_waitcnt lgkmcnt(1)
	v_pk_add_f16 v117, v111, v113
	s_waitcnt lgkmcnt(0)
	v_pk_add_f16 v122, v117, v115
	v_pk_add_f16 v117, v113, v115
	v_pk_fma_f16 v111, v117, 0.5, v111 op_sel_hi:[1,0,1] neg_lo:[1,0,0] neg_hi:[1,0,0]
	ds_read2_b32 v[117:118], v107 offset0:116 offset1:179
	v_pk_add_f16 v113, v113, v115 neg_lo:[0,1] neg_hi:[0,1]
	v_pk_mul_f16 v113, v113, s4 op_sel_hi:[1,0]
	v_pk_add_f16 v115, v111, v113 op_sel:[0,1] op_sel_hi:[1,0] neg_lo:[0,1] neg_hi:[0,1]
	v_pk_add_f16 v111, v111, v113 op_sel:[0,1] op_sel_hi:[1,0]
	v_bfi_b32 v113, s5, v115, v111
	v_bfi_b32 v153, s5, v111, v115
	s_waitcnt lgkmcnt(0)
	v_pk_add_f16 v111, v112, v117
	v_pk_add_f16 v197, v111, v116
	;; [unrolled: 1-line block ×3, first 2 shown]
	v_pk_fma_f16 v198, v111, 0.5, v112 op_sel_hi:[1,0,1] neg_lo:[1,0,0] neg_hi:[1,0,0]
	v_pk_add_f16 v111, v117, v116 neg_lo:[0,1] neg_hi:[0,1]
	v_pk_mul_f16 v117, v111, s4 op_sel_hi:[1,0]
	ds_read2_b32 v[111:112], v108 offset0:124 offset1:187
	ds_read2_b32 v[115:116], v104 offset0:106 offset1:169
	v_pk_add_f16 v199, v198, v117 op_sel:[0,1] op_sel_hi:[1,0] neg_lo:[0,1] neg_hi:[0,1]
	v_pk_add_f16 v117, v198, v117 op_sel:[0,1] op_sel_hi:[1,0]
	v_bfi_b32 v198, s5, v199, v117
	v_bfi_b32 v199, s5, v117, v199
	s_waitcnt lgkmcnt(1)
	v_pk_add_f16 v117, v111, v118
	s_waitcnt lgkmcnt(0)
	v_pk_add_f16 v200, v117, v115
	v_pk_add_f16 v117, v118, v115
	v_pk_fma_f16 v111, v117, 0.5, v111 op_sel_hi:[1,0,1] neg_lo:[1,0,0] neg_hi:[1,0,0]
	v_pk_add_f16 v115, v118, v115 neg_lo:[0,1] neg_hi:[0,1]
	ds_read2_b32 v[117:118], v105 offset0:114 offset1:177
	v_pk_mul_f16 v115, v115, s4 op_sel_hi:[1,0]
	v_pk_add_f16 v201, v111, v115 op_sel:[0,1] op_sel_hi:[1,0] neg_lo:[0,1] neg_hi:[0,1]
	v_pk_add_f16 v111, v111, v115 op_sel:[0,1] op_sel_hi:[1,0]
	v_bfi_b32 v202, s5, v201, v111
	v_bfi_b32 v201, s5, v111, v201
	s_waitcnt lgkmcnt(0)
	v_pk_add_f16 v111, v112, v117
	v_pk_add_f16 v203, v111, v116
	;; [unrolled: 1-line block ×3, first 2 shown]
	v_pk_fma_f16 v204, v111, 0.5, v112 op_sel_hi:[1,0,1] neg_lo:[1,0,0] neg_hi:[1,0,0]
	v_pk_add_f16 v111, v117, v116 neg_lo:[0,1] neg_hi:[0,1]
	v_pk_mul_f16 v117, v111, s4 op_sel_hi:[1,0]
	ds_read2_b32 v[111:112], v99 offset0:122 offset1:185
	ds_read2_b32 v[115:116], v109 offset0:104 offset1:167
	v_pk_add_f16 v205, v204, v117 op_sel:[0,1] op_sel_hi:[1,0] neg_lo:[0,1] neg_hi:[0,1]
	v_pk_add_f16 v117, v204, v117 op_sel:[0,1] op_sel_hi:[1,0]
	v_bfi_b32 v204, s5, v205, v117
	v_bfi_b32 v205, s5, v117, v205
	s_waitcnt lgkmcnt(1)
	v_pk_add_f16 v117, v111, v118
	s_waitcnt lgkmcnt(0)
	v_pk_add_f16 v206, v117, v115
	v_pk_add_f16 v117, v118, v115
	v_pk_fma_f16 v111, v117, 0.5, v111 op_sel_hi:[1,0,1] neg_lo:[1,0,0] neg_hi:[1,0,0]
	v_pk_add_f16 v115, v118, v115 neg_lo:[0,1] neg_hi:[0,1]
	ds_read2_b32 v[117:118], v106 offset0:112 offset1:175
	v_pk_mul_f16 v115, v115, s4 op_sel_hi:[1,0]
	v_pk_add_f16 v207, v111, v115 op_sel:[0,1] op_sel_hi:[1,0] neg_lo:[0,1] neg_hi:[0,1]
	v_pk_add_f16 v111, v111, v115 op_sel:[0,1] op_sel_hi:[1,0]
	v_bfi_b32 v115, s5, v207, v111
	v_bfi_b32 v207, s5, v111, v207
	s_waitcnt lgkmcnt(0)
	v_pk_add_f16 v111, v112, v117
	v_pk_add_f16 v208, v111, v116
	;; [unrolled: 1-line block ×3, first 2 shown]
	v_pk_fma_f16 v209, v111, 0.5, v112 op_sel_hi:[1,0,1] neg_lo:[1,0,0] neg_hi:[1,0,0]
	v_pk_add_f16 v111, v117, v116 neg_lo:[0,1] neg_hi:[0,1]
	v_pk_mul_f16 v116, v111, s4 op_sel_hi:[1,0]
	ds_read2_b32 v[111:112], v101 offset0:120 offset1:183
	ds_read_b32 v210, v123 offset:6552
	v_pk_add_f16 v117, v209, v116 op_sel:[0,1] op_sel_hi:[1,0] neg_lo:[0,1] neg_hi:[0,1]
	v_pk_add_f16 v116, v209, v116 op_sel:[0,1] op_sel_hi:[1,0]
	v_bfi_b32 v209, s5, v117, v116
	s_waitcnt lgkmcnt(1)
	v_pk_add_f16 v211, v110, v112
	v_pk_add_f16 v212, v112, v114
	v_pk_add_f16 v112, v112, v114 neg_lo:[0,1] neg_hi:[0,1]
	v_pk_fma_f16 v110, v212, 0.5, v110 op_sel_hi:[1,0,1] neg_lo:[1,0,0] neg_hi:[1,0,0]
	v_pk_mul_f16 v112, v112, s4 op_sel_hi:[1,0]
	v_pk_add_f16 v211, v211, v114
	v_pk_add_f16 v114, v110, v112 op_sel:[0,1] op_sel_hi:[1,0] neg_lo:[0,1] neg_hi:[0,1]
	v_pk_add_f16 v110, v110, v112 op_sel:[0,1] op_sel_hi:[1,0]
	v_bfi_b32 v112, s5, v114, v110
	v_bfi_b32 v110, s5, v110, v114
	v_bfi_b32 v116, s5, v116, v117
	s_waitcnt lgkmcnt(0)
	; wave barrier
	s_waitcnt lgkmcnt(0)
	ds_write2_b32 v152, v211, v112 offset1:1
	ds_write_b32 v152, v110 offset:8
	ds_write2_b32 v163, v119, v120 offset1:1
	ds_write_b32 v163, v121 offset:8
	;; [unrolled: 2-line block ×8, first 2 shown]
	v_pk_add_f16 v110, v118, v210
	v_pk_add_f16 v117, v111, v118
	v_pk_fma_f16 v110, v110, 0.5, v111 op_sel_hi:[1,0,1] neg_lo:[1,0,0] neg_hi:[1,0,0]
	v_pk_add_f16 v111, v118, v210 neg_lo:[0,1] neg_hi:[0,1]
	v_pk_mul_f16 v111, v111, s4 op_sel_hi:[1,0]
	v_pk_add_f16 v112, v110, v111 op_sel:[0,1] op_sel_hi:[1,0] neg_lo:[0,1] neg_hi:[0,1]
	v_pk_add_f16 v110, v110, v111 op_sel:[0,1] op_sel_hi:[1,0]
	v_pk_add_f16 v117, v117, v210
	v_bfi_b32 v111, s5, v112, v110
	v_bfi_b32 v110, s5, v110, v112
	ds_write2_b32 v172, v117, v111 offset1:1
	ds_write_b32 v172, v110 offset:8
	s_waitcnt lgkmcnt(0)
	; wave barrier
	s_waitcnt lgkmcnt(0)
	ds_read2_b32 v[110:111], v123 offset1:63
	ds_read2_b32 v[112:113], v101 offset0:120 offset1:183
	ds_read2_b32 v[114:115], v100 offset0:110 offset1:173
	;; [unrolled: 1-line block ×5, first 2 shown]
	s_waitcnt lgkmcnt(4)
	v_lshrrev_b32_e32 v166, 16, v113
	v_mul_f16_sdwa v228, v17, v166 dst_sel:DWORD dst_unused:UNUSED_PAD src0_sel:WORD_1 src1_sel:DWORD
	s_waitcnt lgkmcnt(3)
	v_lshrrev_b32_e32 v173, 16, v114
	v_fma_f16 v228, v17, v113, v228
	v_mul_f16_sdwa v113, v17, v113 dst_sel:DWORD dst_unused:UNUSED_PAD src0_sel:WORD_1 src1_sel:DWORD
	v_fma_f16 v17, v17, v166, -v113
	v_mul_f16_sdwa v113, v18, v173 dst_sel:DWORD dst_unused:UNUSED_PAD src0_sel:WORD_1 src1_sel:DWORD
	s_waitcnt lgkmcnt(2)
	v_lshrrev_b32_e32 v204, 16, v116
	v_fma_f16 v113, v18, v114, v113
	v_mul_f16_sdwa v114, v18, v114 dst_sel:DWORD dst_unused:UNUSED_PAD src0_sel:WORD_1 src1_sel:DWORD
	v_fma_f16 v18, v18, v173, -v114
	v_mul_f16_sdwa v114, v23, v204 dst_sel:DWORD dst_unused:UNUSED_PAD src0_sel:WORD_1 src1_sel:DWORD
	v_lshrrev_b32_e32 v205, 16, v115
	v_fma_f16 v114, v23, v116, v114
	v_mul_f16_sdwa v116, v23, v116 dst_sel:DWORD dst_unused:UNUSED_PAD src0_sel:WORD_1 src1_sel:DWORD
	v_fma_f16 v23, v23, v204, -v116
	v_mul_f16_sdwa v116, v24, v205 dst_sel:DWORD dst_unused:UNUSED_PAD src0_sel:WORD_1 src1_sel:DWORD
	v_lshrrev_b32_e32 v207, 16, v117
	v_fma_f16 v116, v24, v115, v116
	v_mul_f16_sdwa v115, v24, v115 dst_sel:DWORD dst_unused:UNUSED_PAD src0_sel:WORD_1 src1_sel:DWORD
	v_fma_f16 v24, v24, v205, -v115
	v_mul_f16_sdwa v115, v21, v207 dst_sel:DWORD dst_unused:UNUSED_PAD src0_sel:WORD_1 src1_sel:DWORD
	s_waitcnt lgkmcnt(1)
	v_lshrrev_b32_e32 v208, 16, v120
	v_fma_f16 v115, v21, v117, v115
	v_mul_f16_sdwa v117, v21, v117 dst_sel:DWORD dst_unused:UNUSED_PAD src0_sel:WORD_1 src1_sel:DWORD
	v_fma_f16 v21, v21, v207, -v117
	v_mul_f16_sdwa v117, v22, v208 dst_sel:DWORD dst_unused:UNUSED_PAD src0_sel:WORD_1 src1_sel:DWORD
	s_waitcnt lgkmcnt(0)
	v_lshrrev_b32_e32 v210, 16, v152
	v_fma_f16 v117, v22, v120, v117
	v_mul_f16_sdwa v120, v22, v120 dst_sel:DWORD dst_unused:UNUSED_PAD src0_sel:WORD_1 src1_sel:DWORD
	ds_read2_b32 v[169:170], v104 offset0:106 offset1:169
	v_fma_f16 v22, v22, v208, -v120
	v_mul_f16_sdwa v120, v19, v210 dst_sel:DWORD dst_unused:UNUSED_PAD src0_sel:WORD_1 src1_sel:DWORD
	v_lshrrev_b32_e32 v211, 16, v121
	ds_read2_b32 v[171:172], v105 offset0:114 offset1:177
	v_fma_f16 v120, v19, v152, v120
	v_mul_f16_sdwa v152, v19, v152 dst_sel:DWORD dst_unused:UNUSED_PAD src0_sel:WORD_1 src1_sel:DWORD
	v_fma_f16 v19, v19, v210, -v152
	v_mul_f16_sdwa v152, v20, v211 dst_sel:DWORD dst_unused:UNUSED_PAD src0_sel:WORD_1 src1_sel:DWORD
	v_lshrrev_b32_e32 v213, 16, v153
	v_fma_f16 v152, v20, v121, v152
	v_mul_f16_sdwa v121, v20, v121 dst_sel:DWORD dst_unused:UNUSED_PAD src0_sel:WORD_1 src1_sel:DWORD
	v_fma_f16 v20, v20, v211, -v121
	v_mul_f16_sdwa v121, v39, v213 dst_sel:DWORD dst_unused:UNUSED_PAD src0_sel:WORD_1 src1_sel:DWORD
	s_waitcnt lgkmcnt(1)
	v_lshrrev_b32_e32 v214, 16, v169
	ds_read2_b32 v[199:200], v109 offset0:104 offset1:167
	v_fma_f16 v121, v39, v153, v121
	v_mul_f16_sdwa v153, v39, v153 dst_sel:DWORD dst_unused:UNUSED_PAD src0_sel:WORD_1 src1_sel:DWORD
	s_waitcnt lgkmcnt(1)
	v_lshrrev_b32_e32 v216, 16, v171
	ds_read2_b32 v[201:202], v106 offset0:112 offset1:175
	v_fma_f16 v39, v39, v213, -v153
	v_mul_f16_sdwa v153, v40, v214 dst_sel:DWORD dst_unused:UNUSED_PAD src0_sel:WORD_1 src1_sel:DWORD
	v_mul_f16_sdwa v166, v40, v169 dst_sel:DWORD dst_unused:UNUSED_PAD src0_sel:WORD_1 src1_sel:DWORD
	v_lshrrev_b32_e32 v217, 16, v170
	v_fma_f16 v153, v40, v169, v153
	v_fma_f16 v40, v40, v214, -v166
	v_mul_f16_sdwa v166, v35, v216 dst_sel:DWORD dst_unused:UNUSED_PAD src0_sel:WORD_1 src1_sel:DWORD
	v_mul_f16_sdwa v169, v35, v171 dst_sel:DWORD dst_unused:UNUSED_PAD src0_sel:WORD_1 src1_sel:DWORD
	v_fma_f16 v166, v35, v171, v166
	v_fma_f16 v35, v35, v216, -v169
	v_mul_f16_sdwa v169, v36, v217 dst_sel:DWORD dst_unused:UNUSED_PAD src0_sel:WORD_1 src1_sel:DWORD
	v_lshrrev_b32_e32 v219, 16, v172
	ds_read_b32 v222, v123 offset:6552
	v_fma_f16 v169, v36, v170, v169
	v_mul_f16_sdwa v170, v36, v170 dst_sel:DWORD dst_unused:UNUSED_PAD src0_sel:WORD_1 src1_sel:DWORD
	s_waitcnt lgkmcnt(2)
	v_lshrrev_b32_e32 v220, 16, v199
	v_fma_f16 v36, v36, v217, -v170
	v_mul_f16_sdwa v170, v29, v219 dst_sel:DWORD dst_unused:UNUSED_PAD src0_sel:WORD_1 src1_sel:DWORD
	v_mul_f16_sdwa v171, v29, v172 dst_sel:DWORD dst_unused:UNUSED_PAD src0_sel:WORD_1 src1_sel:DWORD
	s_waitcnt lgkmcnt(1)
	v_lshrrev_b32_e32 v223, 16, v201
	v_fma_f16 v170, v29, v172, v170
	v_fma_f16 v29, v29, v219, -v171
	v_mul_f16_sdwa v171, v30, v220 dst_sel:DWORD dst_unused:UNUSED_PAD src0_sel:WORD_1 src1_sel:DWORD
	v_mul_f16_sdwa v172, v30, v199 dst_sel:DWORD dst_unused:UNUSED_PAD src0_sel:WORD_1 src1_sel:DWORD
	v_lshrrev_b32_e32 v224, 16, v200
	v_fma_f16 v171, v30, v199, v171
	v_fma_f16 v30, v30, v220, -v172
	v_mul_f16_sdwa v172, v27, v223 dst_sel:DWORD dst_unused:UNUSED_PAD src0_sel:WORD_1 src1_sel:DWORD
	v_mul_f16_sdwa v173, v27, v201 dst_sel:DWORD dst_unused:UNUSED_PAD src0_sel:WORD_1 src1_sel:DWORD
	;; [unrolled: 5-line block ×3, first 2 shown]
	s_waitcnt lgkmcnt(0)
	v_lshrrev_b32_e32 v227, 16, v222
	v_fma_f16 v173, v28, v200, v173
	v_fma_f16 v28, v28, v224, -v199
	v_mul_f16_sdwa v199, v25, v226 dst_sel:DWORD dst_unused:UNUSED_PAD src0_sel:WORD_1 src1_sel:DWORD
	v_mul_f16_sdwa v200, v25, v202 dst_sel:DWORD dst_unused:UNUSED_PAD src0_sel:WORD_1 src1_sel:DWORD
	v_fma_f16 v199, v25, v202, v199
	v_fma_f16 v25, v25, v226, -v200
	v_mul_f16_sdwa v200, v26, v227 dst_sel:DWORD dst_unused:UNUSED_PAD src0_sel:WORD_1 src1_sel:DWORD
	v_mul_f16_sdwa v201, v26, v222 dst_sel:DWORD dst_unused:UNUSED_PAD src0_sel:WORD_1 src1_sel:DWORD
	v_add_f16_e32 v202, v228, v113
	v_lshrrev_b32_e32 v122, 16, v110
	v_fma_f16 v200, v26, v222, v200
	v_fma_f16 v26, v26, v227, -v201
	v_add_f16_e32 v201, v110, v228
	v_fma_f16 v110, v202, -0.5, v110
	v_sub_f16_e32 v202, v17, v18
	s_mov_b32 s5, 0xbaee
	ds_read2_b32 v[118:119], v123 offset0:126 offset1:189
	v_fma_f16 v204, v202, s5, v110
	v_fma_f16 v110, v202, s4, v110
	v_add_f16_e32 v202, v122, v17
	v_add_f16_e32 v17, v17, v18
	v_add_f16_e32 v202, v202, v18
	v_fma_f16 v17, v17, -0.5, v122
	v_sub_f16_e32 v18, v228, v113
	v_add_f16_e32 v122, v114, v116
	v_lshrrev_b32_e32 v203, 16, v111
	v_add_f16_e32 v201, v201, v113
	v_fma_f16 v113, v18, s4, v17
	v_fma_f16 v17, v18, s5, v17
	v_add_f16_e32 v18, v111, v114
	v_fma_f16 v111, v122, -0.5, v111
	v_sub_f16_e32 v122, v23, v24
	v_fma_f16 v205, v122, s5, v111
	v_fma_f16 v111, v122, s4, v111
	v_add_f16_e32 v122, v203, v23
	v_add_f16_e32 v23, v23, v24
	;; [unrolled: 1-line block ×4, first 2 shown]
	v_fma_f16 v23, v23, -0.5, v203
	v_sub_f16_e32 v24, v114, v116
	v_add_f16_e32 v116, v115, v117
	s_waitcnt lgkmcnt(0)
	v_lshrrev_b32_e32 v206, 16, v118
	v_fma_f16 v114, v24, s4, v23
	v_fma_f16 v23, v24, s5, v23
	v_add_f16_e32 v24, v118, v115
	v_fma_f16 v116, v116, -0.5, v118
	v_sub_f16_e32 v118, v21, v22
	ds_read2_b32 v[163:164], v108 offset0:124 offset1:187
	v_fma_f16 v203, v118, s5, v116
	v_fma_f16 v116, v118, s4, v116
	v_add_f16_e32 v118, v206, v21
	v_add_f16_e32 v21, v21, v22
	;; [unrolled: 1-line block ×4, first 2 shown]
	v_fma_f16 v21, v21, -0.5, v206
	v_sub_f16_e32 v22, v115, v117
	v_add_f16_e32 v117, v120, v152
	v_lshrrev_b32_e32 v209, 16, v119
	v_fma_f16 v115, v22, s4, v21
	v_fma_f16 v21, v22, s5, v21
	v_add_f16_e32 v22, v119, v120
	v_fma_f16 v117, v117, -0.5, v119
	v_sub_f16_e32 v119, v19, v20
	v_fma_f16 v206, v119, s5, v117
	v_fma_f16 v117, v119, s4, v117
	v_add_f16_e32 v119, v209, v19
	v_add_f16_e32 v19, v19, v20
	;; [unrolled: 1-line block ×4, first 2 shown]
	v_fma_f16 v19, v19, -0.5, v209
	v_sub_f16_e32 v20, v120, v152
	v_add_f16_e32 v152, v121, v153
	s_waitcnt lgkmcnt(0)
	v_lshrrev_b32_e32 v212, 16, v163
	v_fma_f16 v120, v20, s4, v19
	v_fma_f16 v19, v20, s5, v19
	v_add_f16_e32 v20, v163, v121
	v_fma_f16 v152, v152, -0.5, v163
	v_sub_f16_e32 v163, v39, v40
	ds_read2_b32 v[197:198], v99 offset0:122 offset1:185
	v_fma_f16 v207, v163, s5, v152
	v_fma_f16 v152, v163, s4, v152
	v_add_f16_e32 v163, v212, v39
	v_add_f16_e32 v39, v39, v40
	v_add_f16_e32 v20, v20, v153
	v_add_f16_e32 v163, v163, v40
	v_fma_f16 v39, v39, -0.5, v212
	v_sub_f16_e32 v40, v121, v153
	v_add_f16_e32 v153, v166, v169
	v_lshrrev_b32_e32 v215, 16, v164
	v_fma_f16 v121, v40, s4, v39
	v_fma_f16 v39, v40, s5, v39
	v_add_f16_e32 v40, v164, v166
	v_fma_f16 v153, v153, -0.5, v164
	v_sub_f16_e32 v164, v35, v36
	v_fma_f16 v208, v164, s5, v153
	v_fma_f16 v153, v164, s4, v153
	v_add_f16_e32 v164, v215, v35
	v_add_f16_e32 v35, v35, v36
	v_add_f16_e32 v40, v40, v169
	v_add_f16_e32 v164, v164, v36
	v_fma_f16 v35, v35, -0.5, v215
	v_sub_f16_e32 v36, v166, v169
	v_add_f16_e32 v169, v170, v171
	s_waitcnt lgkmcnt(0)
	v_lshrrev_b32_e32 v218, 16, v197
	v_fma_f16 v166, v36, s4, v35
	v_fma_f16 v35, v36, s5, v35
	v_add_f16_e32 v36, v197, v170
	v_fma_f16 v169, v169, -0.5, v197
	v_sub_f16_e32 v197, v29, v30
	v_fma_f16 v209, v197, s5, v169
	v_fma_f16 v169, v197, s4, v169
	v_add_f16_e32 v197, v218, v29
	v_add_f16_e32 v29, v29, v30
	;; [unrolled: 1-line block ×4, first 2 shown]
	v_fma_f16 v29, v29, -0.5, v218
	v_sub_f16_e32 v30, v170, v171
	v_add_f16_e32 v171, v172, v173
	v_lshrrev_b32_e32 v221, 16, v198
	v_fma_f16 v170, v30, s4, v29
	v_fma_f16 v29, v30, s5, v29
	v_add_f16_e32 v30, v198, v172
	v_fma_f16 v171, v171, -0.5, v198
	v_sub_f16_e32 v198, v27, v28
	v_fma_f16 v210, v198, s5, v171
	v_fma_f16 v171, v198, s4, v171
	v_add_f16_e32 v198, v221, v27
	v_add_f16_e32 v27, v27, v28
	v_add_f16_e32 v30, v30, v173
	v_add_f16_e32 v198, v198, v28
	v_fma_f16 v27, v27, -0.5, v221
	v_sub_f16_e32 v28, v172, v173
	v_add_f16_e32 v173, v199, v200
	v_lshrrev_b32_e32 v225, 16, v112
	v_fma_f16 v172, v28, s4, v27
	v_fma_f16 v27, v28, s5, v27
	v_add_f16_e32 v28, v112, v199
	v_fma_f16 v112, v173, -0.5, v112
	v_sub_f16_e32 v173, v25, v26
	v_fma_f16 v211, v173, s5, v112
	v_fma_f16 v112, v173, s4, v112
	v_add_f16_e32 v173, v225, v25
	v_add_f16_e32 v25, v25, v26
	;; [unrolled: 1-line block ×3, first 2 shown]
	v_fma_f16 v25, v25, -0.5, v225
	v_sub_f16_e32 v26, v199, v200
	v_pack_b32_f16 v17, v110, v17
	v_fma_f16 v199, v26, s4, v25
	v_fma_f16 v25, v26, s5, v25
	s_waitcnt lgkmcnt(0)
	; wave barrier
	v_pack_b32_f16 v26, v201, v202
	v_pack_b32_f16 v113, v204, v113
	ds_write_b32 v154, v17 offset:24
	v_pack_b32_f16 v17, v18, v122
	v_pack_b32_f16 v18, v205, v114
	ds_write2_b32 v154, v26, v113 offset1:3
	ds_write2_b32 v156, v17, v18 offset1:3
	v_pack_b32_f16 v17, v111, v23
	ds_write_b32 v156, v17 offset:24
	v_pack_b32_f16 v17, v24, v118
	v_pack_b32_f16 v18, v203, v115
	ds_write2_b32 v157, v17, v18 offset1:3
	v_pack_b32_f16 v17, v116, v21
	ds_write_b32 v157, v17 offset:24
	v_pack_b32_f16 v17, v22, v119
	v_pack_b32_f16 v18, v206, v120
	;; [unrolled: 5-line block ×6, first 2 shown]
	v_add_f16_e32 v28, v28, v200
	ds_write2_b32 v179, v17, v18 offset1:3
	v_pack_b32_f16 v17, v171, v27
	ds_write_b32 v179, v17 offset:24
	v_pack_b32_f16 v17, v28, v173
	v_pack_b32_f16 v18, v211, v199
	ds_write2_b32 v181, v17, v18 offset1:3
	v_pack_b32_f16 v17, v112, v25
	ds_write_b32 v181, v17 offset:24
	s_waitcnt lgkmcnt(0)
	; wave barrier
	s_waitcnt lgkmcnt(0)
	ds_read2_b32 v[17:18], v123 offset1:63
	ds_read2_b32 v[19:20], v101 offset0:120 offset1:183
	ds_read2_b32 v[21:22], v100 offset0:110 offset1:173
	;; [unrolled: 1-line block ×5, first 2 shown]
	s_waitcnt lgkmcnt(4)
	v_lshrrev_b32_e32 v119, 16, v20
	v_mul_f16_sdwa v201, v31, v119 dst_sel:DWORD dst_unused:UNUSED_PAD src0_sel:WORD_1 src1_sel:DWORD
	s_waitcnt lgkmcnt(3)
	v_lshrrev_b32_e32 v120, 16, v21
	v_fma_f16 v201, v31, v20, v201
	v_mul_f16_sdwa v20, v31, v20 dst_sel:DWORD dst_unused:UNUSED_PAD src0_sel:WORD_1 src1_sel:DWORD
	v_fma_f16 v20, v31, v119, -v20
	v_mul_f16_sdwa v31, v32, v120 dst_sel:DWORD dst_unused:UNUSED_PAD src0_sel:WORD_1 src1_sel:DWORD
	s_waitcnt lgkmcnt(2)
	v_lshrrev_b32_e32 v122, 16, v23
	v_fma_f16 v31, v32, v21, v31
	v_mul_f16_sdwa v21, v32, v21 dst_sel:DWORD dst_unused:UNUSED_PAD src0_sel:WORD_1 src1_sel:DWORD
	v_fma_f16 v21, v32, v120, -v21
	v_mul_f16_sdwa v32, v41, v122 dst_sel:DWORD dst_unused:UNUSED_PAD src0_sel:WORD_1 src1_sel:DWORD
	v_lshrrev_b32_e32 v152, 16, v22
	v_fma_f16 v32, v41, v23, v32
	v_mul_f16_sdwa v23, v41, v23 dst_sel:DWORD dst_unused:UNUSED_PAD src0_sel:WORD_1 src1_sel:DWORD
	v_fma_f16 v23, v41, v122, -v23
	v_mul_f16_sdwa v41, v42, v152 dst_sel:DWORD dst_unused:UNUSED_PAD src0_sel:WORD_1 src1_sel:DWORD
	;; [unrolled: 5-line block ×3, first 2 shown]
	s_waitcnt lgkmcnt(1)
	v_lshrrev_b32_e32 v156, 16, v27
	v_fma_f16 v42, v37, v24, v42
	v_mul_f16_sdwa v24, v37, v24 dst_sel:DWORD dst_unused:UNUSED_PAD src0_sel:WORD_1 src1_sel:DWORD
	v_fma_f16 v24, v37, v154, -v24
	v_mul_f16_sdwa v37, v38, v156 dst_sel:DWORD dst_unused:UNUSED_PAD src0_sel:WORD_1 src1_sel:DWORD
	s_waitcnt lgkmcnt(0)
	v_lshrrev_b32_e32 v160, 16, v29
	v_fma_f16 v37, v38, v27, v37
	v_mul_f16_sdwa v27, v38, v27 dst_sel:DWORD dst_unused:UNUSED_PAD src0_sel:WORD_1 src1_sel:DWORD
	ds_read2_b32 v[39:40], v104 offset0:106 offset1:169
	v_fma_f16 v27, v38, v156, -v27
	v_mul_f16_sdwa v38, v33, v160 dst_sel:DWORD dst_unused:UNUSED_PAD src0_sel:WORD_1 src1_sel:DWORD
	v_lshrrev_b32_e32 v162, 16, v28
	v_fma_f16 v38, v33, v29, v38
	v_mul_f16_sdwa v29, v33, v29 dst_sel:DWORD dst_unused:UNUSED_PAD src0_sel:WORD_1 src1_sel:DWORD
	ds_read2_b32 v[110:111], v105 offset0:114 offset1:177
	v_fma_f16 v29, v33, v160, -v29
	v_mul_f16_sdwa v33, v34, v162 dst_sel:DWORD dst_unused:UNUSED_PAD src0_sel:WORD_1 src1_sel:DWORD
	v_lshrrev_b32_e32 v164, 16, v30
	v_fma_f16 v33, v34, v28, v33
	v_mul_f16_sdwa v28, v34, v28 dst_sel:DWORD dst_unused:UNUSED_PAD src0_sel:WORD_1 src1_sel:DWORD
	v_fma_f16 v28, v34, v162, -v28
	v_mul_f16_sdwa v34, v53, v164 dst_sel:DWORD dst_unused:UNUSED_PAD src0_sel:WORD_1 src1_sel:DWORD
	s_waitcnt lgkmcnt(1)
	v_lshrrev_b32_e32 v166, 16, v39
	v_fma_f16 v34, v53, v30, v34
	v_mul_f16_sdwa v30, v53, v30 dst_sel:DWORD dst_unused:UNUSED_PAD src0_sel:WORD_1 src1_sel:DWORD
	v_fma_f16 v30, v53, v164, -v30
	v_mul_f16_sdwa v53, v54, v166 dst_sel:DWORD dst_unused:UNUSED_PAD src0_sel:WORD_1 src1_sel:DWORD
	s_waitcnt lgkmcnt(0)
	v_lshrrev_b32_e32 v169, 16, v110
	v_fma_f16 v53, v54, v39, v53
	v_mul_f16_sdwa v39, v54, v39 dst_sel:DWORD dst_unused:UNUSED_PAD src0_sel:WORD_1 src1_sel:DWORD
	ds_read2_b32 v[114:115], v109 offset0:104 offset1:167
	v_fma_f16 v39, v54, v166, -v39
	v_mul_f16_sdwa v54, v49, v169 dst_sel:DWORD dst_unused:UNUSED_PAD src0_sel:WORD_1 src1_sel:DWORD
	v_lshrrev_b32_e32 v170, 16, v40
	v_fma_f16 v54, v49, v110, v54
	v_mul_f16_sdwa v110, v49, v110 dst_sel:DWORD dst_unused:UNUSED_PAD src0_sel:WORD_1 src1_sel:DWORD
	ds_read2_b32 v[116:117], v106 offset0:112 offset1:175
	v_fma_f16 v49, v49, v169, -v110
	v_mul_f16_sdwa v110, v50, v170 dst_sel:DWORD dst_unused:UNUSED_PAD src0_sel:WORD_1 src1_sel:DWORD
	v_lshrrev_b32_e32 v172, 16, v111
	v_fma_f16 v110, v50, v40, v110
	v_mul_f16_sdwa v40, v50, v40 dst_sel:DWORD dst_unused:UNUSED_PAD src0_sel:WORD_1 src1_sel:DWORD
	v_fma_f16 v40, v50, v170, -v40
	v_mul_f16_sdwa v50, v47, v172 dst_sel:DWORD dst_unused:UNUSED_PAD src0_sel:WORD_1 src1_sel:DWORD
	s_waitcnt lgkmcnt(1)
	v_lshrrev_b32_e32 v173, 16, v114
	v_fma_f16 v50, v47, v111, v50
	v_mul_f16_sdwa v111, v47, v111 dst_sel:DWORD dst_unused:UNUSED_PAD src0_sel:WORD_1 src1_sel:DWORD
	v_fma_f16 v47, v47, v172, -v111
	v_mul_f16_sdwa v111, v48, v173 dst_sel:DWORD dst_unused:UNUSED_PAD src0_sel:WORD_1 src1_sel:DWORD
	s_waitcnt lgkmcnt(0)
	v_lshrrev_b32_e32 v181, 16, v116
	v_fma_f16 v111, v48, v114, v111
	v_mul_f16_sdwa v114, v48, v114 dst_sel:DWORD dst_unused:UNUSED_PAD src0_sel:WORD_1 src1_sel:DWORD
	ds_read_b32 v179, v123 offset:6552
	v_fma_f16 v48, v48, v173, -v114
	v_mul_f16_sdwa v114, v43, v181 dst_sel:DWORD dst_unused:UNUSED_PAD src0_sel:WORD_1 src1_sel:DWORD
	v_lshrrev_b32_e32 v197, 16, v115
	v_fma_f16 v114, v43, v116, v114
	v_mul_f16_sdwa v116, v43, v116 dst_sel:DWORD dst_unused:UNUSED_PAD src0_sel:WORD_1 src1_sel:DWORD
	v_fma_f16 v43, v43, v181, -v116
	v_mul_f16_sdwa v116, v44, v197 dst_sel:DWORD dst_unused:UNUSED_PAD src0_sel:WORD_1 src1_sel:DWORD
	v_lshrrev_b32_e32 v199, 16, v117
	v_fma_f16 v116, v44, v115, v116
	v_mul_f16_sdwa v115, v44, v115 dst_sel:DWORD dst_unused:UNUSED_PAD src0_sel:WORD_1 src1_sel:DWORD
	v_fma_f16 v44, v44, v197, -v115
	v_mul_f16_sdwa v115, v45, v199 dst_sel:DWORD dst_unused:UNUSED_PAD src0_sel:WORD_1 src1_sel:DWORD
	s_waitcnt lgkmcnt(0)
	v_lshrrev_b32_e32 v200, 16, v179
	v_fma_f16 v115, v45, v117, v115
	v_mul_f16_sdwa v117, v45, v117 dst_sel:DWORD dst_unused:UNUSED_PAD src0_sel:WORD_1 src1_sel:DWORD
	v_fma_f16 v45, v45, v199, -v117
	v_mul_f16_sdwa v117, v46, v200 dst_sel:DWORD dst_unused:UNUSED_PAD src0_sel:WORD_1 src1_sel:DWORD
	v_mul_f16_sdwa v119, v46, v179 dst_sel:DWORD dst_unused:UNUSED_PAD src0_sel:WORD_1 src1_sel:DWORD
	v_add_f16_e32 v120, v201, v31
	v_lshrrev_b32_e32 v118, 16, v17
	v_fma_f16 v117, v46, v179, v117
	v_fma_f16 v46, v46, v200, -v119
	v_add_f16_e32 v119, v17, v201
	v_fma_f16 v17, v120, -0.5, v17
	v_sub_f16_e32 v120, v20, v21
	v_fma_f16 v122, v120, s5, v17
	v_fma_f16 v17, v120, s4, v17
	v_add_f16_e32 v120, v118, v20
	v_add_f16_e32 v20, v20, v21
	ds_read2_b32 v[25:26], v123 offset0:126 offset1:189
	v_add_f16_e32 v120, v120, v21
	v_fma_f16 v20, v20, -0.5, v118
	v_sub_f16_e32 v21, v201, v31
	v_add_f16_e32 v118, v32, v41
	v_lshrrev_b32_e32 v121, 16, v18
	v_add_f16_e32 v119, v119, v31
	v_fma_f16 v31, v21, s4, v20
	v_fma_f16 v20, v21, s5, v20
	v_add_f16_e32 v21, v18, v32
	v_fma_f16 v18, v118, -0.5, v18
	v_sub_f16_e32 v118, v23, v22
	v_fma_f16 v152, v118, s5, v18
	v_fma_f16 v18, v118, s4, v18
	v_add_f16_e32 v118, v121, v23
	v_add_f16_e32 v118, v118, v22
	v_add_f16_e32 v22, v23, v22
	v_add_f16_e32 v21, v21, v41
	v_fma_f16 v22, v22, -0.5, v121
	v_sub_f16_e32 v23, v32, v41
	v_add_f16_e32 v41, v42, v37
	s_waitcnt lgkmcnt(0)
	v_lshrrev_b32_e32 v153, 16, v25
	v_fma_f16 v32, v23, s4, v22
	v_fma_f16 v22, v23, s5, v22
	v_add_f16_e32 v23, v25, v42
	v_fma_f16 v25, v41, -0.5, v25
	v_sub_f16_e32 v41, v24, v27
	v_fma_f16 v121, v41, s5, v25
	v_fma_f16 v25, v41, s4, v25
	v_add_f16_e32 v41, v153, v24
	v_add_f16_e32 v24, v24, v27
	ds_read2_b32 v[35:36], v108 offset0:124 offset1:187
	v_add_f16_e32 v41, v41, v27
	v_fma_f16 v24, v24, -0.5, v153
	v_sub_f16_e32 v27, v42, v37
	v_add_f16_e32 v42, v38, v33
	v_lshrrev_b32_e32 v157, 16, v26
	v_add_f16_e32 v23, v23, v37
	v_fma_f16 v37, v27, s4, v24
	v_fma_f16 v24, v27, s5, v24
	v_add_f16_e32 v27, v26, v38
	v_fma_f16 v26, v42, -0.5, v26
	v_sub_f16_e32 v42, v29, v28
	v_fma_f16 v153, v42, s5, v26
	v_fma_f16 v26, v42, s4, v26
	v_add_f16_e32 v42, v157, v29
	v_add_f16_e32 v42, v42, v28
	;; [unrolled: 1-line block ×3, first 2 shown]
	v_fma_f16 v28, v28, -0.5, v157
	v_sub_f16_e32 v29, v38, v33
	v_add_f16_e32 v38, v34, v53
	s_waitcnt lgkmcnt(0)
	v_lshrrev_b32_e32 v163, 16, v35
	v_add_f16_e32 v27, v27, v33
	v_fma_f16 v33, v29, s4, v28
	v_fma_f16 v28, v29, s5, v28
	v_add_f16_e32 v29, v35, v34
	v_fma_f16 v35, v38, -0.5, v35
	v_sub_f16_e32 v38, v30, v39
	v_fma_f16 v154, v38, s5, v35
	v_fma_f16 v35, v38, s4, v35
	v_add_f16_e32 v38, v163, v30
	v_add_f16_e32 v30, v30, v39
	ds_read2_b32 v[112:113], v99 offset0:122 offset1:185
	v_add_f16_e32 v29, v29, v53
	v_fma_f16 v30, v30, -0.5, v163
	v_sub_f16_e32 v34, v34, v53
	v_add_f16_e32 v53, v54, v110
	v_lshrrev_b32_e32 v168, 16, v36
	v_add_f16_e32 v38, v38, v39
	v_fma_f16 v39, v34, s4, v30
	v_fma_f16 v30, v34, s5, v30
	v_add_f16_e32 v34, v36, v54
	v_fma_f16 v36, v53, -0.5, v36
	v_sub_f16_e32 v53, v49, v40
	v_fma_f16 v156, v53, s5, v36
	v_fma_f16 v36, v53, s4, v36
	v_add_f16_e32 v53, v168, v49
	v_add_f16_e32 v53, v53, v40
	;; [unrolled: 1-line block ×4, first 2 shown]
	v_fma_f16 v40, v40, -0.5, v168
	v_sub_f16_e32 v49, v54, v110
	v_add_f16_e32 v110, v50, v111
	s_waitcnt lgkmcnt(0)
	v_lshrrev_b32_e32 v171, 16, v112
	v_fma_f16 v54, v49, s4, v40
	v_fma_f16 v40, v49, s5, v40
	v_add_f16_e32 v49, v112, v50
	v_fma_f16 v110, v110, -0.5, v112
	v_sub_f16_e32 v112, v47, v48
	v_fma_f16 v157, v112, s5, v110
	v_fma_f16 v110, v112, s4, v110
	v_add_f16_e32 v112, v171, v47
	v_add_f16_e32 v47, v47, v48
	;; [unrolled: 1-line block ×4, first 2 shown]
	v_fma_f16 v47, v47, -0.5, v171
	v_sub_f16_e32 v48, v50, v111
	v_add_f16_e32 v111, v114, v116
	v_lshrrev_b32_e32 v176, 16, v113
	v_fma_f16 v50, v48, s4, v47
	v_fma_f16 v47, v48, s5, v47
	v_add_f16_e32 v48, v113, v114
	v_fma_f16 v111, v111, -0.5, v113
	v_sub_f16_e32 v113, v43, v44
	v_fma_f16 v160, v113, s5, v111
	v_fma_f16 v111, v113, s4, v111
	v_add_f16_e32 v113, v176, v43
	v_add_f16_e32 v43, v43, v44
	;; [unrolled: 1-line block ×4, first 2 shown]
	v_fma_f16 v43, v43, -0.5, v176
	v_sub_f16_e32 v44, v114, v116
	v_add_f16_e32 v116, v115, v117
	v_lshrrev_b32_e32 v198, 16, v19
	v_fma_f16 v114, v44, s4, v43
	v_fma_f16 v43, v44, s5, v43
	v_add_f16_e32 v44, v19, v115
	v_fma_f16 v19, v116, -0.5, v19
	v_sub_f16_e32 v116, v45, v46
	v_fma_f16 v162, v116, s5, v19
	v_fma_f16 v19, v116, s4, v19
	v_add_f16_e32 v116, v198, v45
	v_add_f16_e32 v45, v45, v46
	;; [unrolled: 1-line block ×3, first 2 shown]
	v_fma_f16 v45, v45, -0.5, v198
	v_sub_f16_e32 v46, v115, v117
	v_pack_b32_f16 v17, v17, v20
	v_fma_f16 v115, v46, s4, v45
	v_fma_f16 v45, v46, s5, v45
	s_waitcnt lgkmcnt(0)
	; wave barrier
	v_pack_b32_f16 v46, v119, v120
	v_pack_b32_f16 v31, v122, v31
	ds_write_b32 v155, v17 offset:72
	v_pack_b32_f16 v17, v21, v118
	v_pack_b32_f16 v20, v152, v32
	ds_write2_b32 v155, v46, v31 offset1:9
	ds_write2_b32 v159, v17, v20 offset1:9
	v_pack_b32_f16 v17, v18, v22
	ds_write_b32 v159, v17 offset:72
	v_pack_b32_f16 v17, v23, v41
	v_pack_b32_f16 v18, v121, v37
	ds_write2_b32 v161, v17, v18 offset1:9
	v_pack_b32_f16 v17, v25, v24
	ds_write_b32 v161, v17 offset:72
	v_pack_b32_f16 v17, v27, v42
	v_pack_b32_f16 v18, v153, v33
	;; [unrolled: 5-line block ×6, first 2 shown]
	v_add_f16_e32 v44, v44, v117
	ds_write2_b32 v183, v17, v18 offset1:9
	v_pack_b32_f16 v17, v111, v43
	ds_write_b32 v183, v17 offset:72
	v_pack_b32_f16 v17, v44, v116
	v_pack_b32_f16 v18, v162, v115
	ds_write2_b32 v185, v17, v18 offset1:9
	v_pack_b32_f16 v17, v19, v45
	ds_write_b32 v185, v17 offset:72
	s_waitcnt lgkmcnt(0)
	; wave barrier
	s_waitcnt lgkmcnt(0)
	ds_read2_b32 v[17:18], v123 offset1:63
	ds_read2_b32 v[19:20], v101 offset0:120 offset1:183
	ds_read2_b32 v[21:22], v100 offset0:110 offset1:173
	;; [unrolled: 1-line block ×5, first 2 shown]
	s_waitcnt lgkmcnt(4)
	v_lshrrev_b32_e32 v44, 16, v20
	v_mul_f16_sdwa v157, v51, v44 dst_sel:DWORD dst_unused:UNUSED_PAD src0_sel:WORD_1 src1_sel:DWORD
	s_waitcnt lgkmcnt(3)
	v_lshrrev_b32_e32 v45, 16, v21
	v_fma_f16 v157, v51, v20, v157
	v_mul_f16_sdwa v20, v51, v20 dst_sel:DWORD dst_unused:UNUSED_PAD src0_sel:WORD_1 src1_sel:DWORD
	v_fma_f16 v20, v51, v44, -v20
	v_mul_f16_sdwa v44, v52, v45 dst_sel:DWORD dst_unused:UNUSED_PAD src0_sel:WORD_1 src1_sel:DWORD
	s_waitcnt lgkmcnt(2)
	v_lshrrev_b32_e32 v47, 16, v23
	v_fma_f16 v44, v52, v21, v44
	v_mul_f16_sdwa v21, v52, v21 dst_sel:DWORD dst_unused:UNUSED_PAD src0_sel:WORD_1 src1_sel:DWORD
	ds_read2_b32 v[39:40], v109 offset0:104 offset1:167
	v_fma_f16 v21, v52, v45, -v21
	v_mul_f16_sdwa v45, v59, v47 dst_sel:DWORD dst_unused:UNUSED_PAD src0_sel:WORD_1 src1_sel:DWORD
	v_lshrrev_b32_e32 v48, 16, v22
	v_fma_f16 v45, v59, v23, v45
	v_mul_f16_sdwa v23, v59, v23 dst_sel:DWORD dst_unused:UNUSED_PAD src0_sel:WORD_1 src1_sel:DWORD
	ds_read2_b32 v[35:36], v105 offset0:114 offset1:177
	v_fma_f16 v23, v59, v47, -v23
	v_mul_f16_sdwa v47, v60, v48 dst_sel:DWORD dst_unused:UNUSED_PAD src0_sel:WORD_1 src1_sel:DWORD
	v_lshrrev_b32_e32 v50, 16, v24
	s_waitcnt lgkmcnt(3)
	v_lshrrev_b32_e32 v152, 16, v41
	v_fma_f16 v47, v60, v22, v47
	v_mul_f16_sdwa v22, v60, v22 dst_sel:DWORD dst_unused:UNUSED_PAD src0_sel:WORD_1 src1_sel:DWORD
	ds_read_b32 v122, v123 offset:6552
	v_fma_f16 v22, v60, v48, -v22
	v_mul_f16_sdwa v48, v57, v50 dst_sel:DWORD dst_unused:UNUSED_PAD src0_sel:WORD_1 src1_sel:DWORD
	v_mul_f16_sdwa v60, v63, v152 dst_sel:DWORD dst_unused:UNUSED_PAD src0_sel:WORD_1 src1_sel:DWORD
	s_waitcnt lgkmcnt(3)
	v_lshrrev_b32_e32 v53, 16, v27
	s_waitcnt lgkmcnt(2)
	v_lshrrev_b32_e32 v153, 16, v40
	v_fma_f16 v48, v57, v24, v48
	v_mul_f16_sdwa v24, v57, v24 dst_sel:DWORD dst_unused:UNUSED_PAD src0_sel:WORD_1 src1_sel:DWORD
	v_fma_f16 v60, v63, v41, v60
	v_mul_f16_sdwa v41, v63, v41 dst_sel:DWORD dst_unused:UNUSED_PAD src0_sel:WORD_1 src1_sel:DWORD
	v_fma_f16 v24, v57, v50, -v24
	v_mul_f16_sdwa v50, v58, v53 dst_sel:DWORD dst_unused:UNUSED_PAD src0_sel:WORD_1 src1_sel:DWORD
	v_fma_f16 v41, v63, v152, -v41
	v_mul_f16_sdwa v63, v64, v153 dst_sel:DWORD dst_unused:UNUSED_PAD src0_sel:WORD_1 src1_sel:DWORD
	ds_read2_b32 v[33:34], v104 offset0:106 offset1:169
	v_lshrrev_b32_e32 v111, 16, v28
	s_waitcnt lgkmcnt(2)
	v_lshrrev_b32_e32 v119, 16, v36
	v_lshrrev_b32_e32 v120, 16, v39
	;; [unrolled: 1-line block ×3, first 2 shown]
	v_fma_f16 v50, v58, v27, v50
	v_mul_f16_sdwa v27, v58, v27 dst_sel:DWORD dst_unused:UNUSED_PAD src0_sel:WORD_1 src1_sel:DWORD
	v_fma_f16 v63, v64, v40, v63
	v_mul_f16_sdwa v40, v64, v40 dst_sel:DWORD dst_unused:UNUSED_PAD src0_sel:WORD_1 src1_sel:DWORD
	v_fma_f16 v27, v58, v53, -v27
	v_mul_f16_sdwa v52, v56, v111 dst_sel:DWORD dst_unused:UNUSED_PAD src0_sel:WORD_1 src1_sel:DWORD
	v_mul_f16_sdwa v58, v65, v119 dst_sel:DWORD dst_unused:UNUSED_PAD src0_sel:WORD_1 src1_sel:DWORD
	;; [unrolled: 1-line block ×3, first 2 shown]
	v_fma_f16 v40, v64, v153, -v40
	v_mul_f16_sdwa v64, v61, v155 dst_sel:DWORD dst_unused:UNUSED_PAD src0_sel:WORD_1 src1_sel:DWORD
	v_lshrrev_b32_e32 v116, 16, v35
	s_waitcnt lgkmcnt(1)
	v_lshrrev_b32_e32 v156, 16, v122
	v_fma_f16 v52, v56, v28, v52
	v_mul_f16_sdwa v28, v56, v28 dst_sel:DWORD dst_unused:UNUSED_PAD src0_sel:WORD_1 src1_sel:DWORD
	v_fma_f16 v58, v65, v36, v58
	v_mul_f16_sdwa v36, v65, v36 dst_sel:DWORD dst_unused:UNUSED_PAD src0_sel:WORD_1 src1_sel:DWORD
	;; [unrolled: 2-line block ×4, first 2 shown]
	v_fma_f16 v28, v56, v111, -v28
	v_mul_f16_sdwa v56, v67, v116 dst_sel:DWORD dst_unused:UNUSED_PAD src0_sel:WORD_1 src1_sel:DWORD
	v_fma_f16 v36, v65, v119, -v36
	v_fma_f16 v39, v66, v120, -v39
	;; [unrolled: 1-line block ×3, first 2 shown]
	v_mul_f16_sdwa v61, v62, v156 dst_sel:DWORD dst_unused:UNUSED_PAD src0_sel:WORD_1 src1_sel:DWORD
	v_mul_f16_sdwa v65, v62, v122 dst_sel:DWORD dst_unused:UNUSED_PAD src0_sel:WORD_1 src1_sel:DWORD
	v_add_f16_e32 v66, v157, v44
	v_lshrrev_b32_e32 v43, 16, v17
	v_fma_f16 v56, v67, v35, v56
	v_mul_f16_sdwa v35, v67, v35 dst_sel:DWORD dst_unused:UNUSED_PAD src0_sel:WORD_1 src1_sel:DWORD
	v_fma_f16 v61, v62, v122, v61
	v_fma_f16 v62, v62, v156, -v65
	v_add_f16_e32 v65, v17, v157
	v_fma_f16 v17, v66, -0.5, v17
	v_sub_f16_e32 v66, v20, v21
	ds_read2_b32 v[29:30], v107 offset0:116 offset1:179
	s_waitcnt lgkmcnt(1)
	v_lshrrev_b32_e32 v117, 16, v34
	v_fma_f16 v35, v67, v116, -v35
	v_fma_f16 v67, v66, s5, v17
	v_fma_f16 v17, v66, s4, v17
	v_add_f16_e32 v66, v43, v20
	v_add_f16_e32 v20, v20, v21
	ds_read2_b32 v[25:26], v123 offset0:126 offset1:189
	v_mul_f16_sdwa v57, v68, v117 dst_sel:DWORD dst_unused:UNUSED_PAD src0_sel:WORD_1 src1_sel:DWORD
	v_add_f16_e32 v65, v65, v44
	v_add_f16_e32 v66, v66, v21
	v_fma_f16 v20, v20, -0.5, v43
	v_sub_f16_e32 v21, v157, v44
	v_add_f16_e32 v44, v45, v47
	v_lshrrev_b32_e32 v46, 16, v18
	v_fma_f16 v57, v68, v34, v57
	v_mul_f16_sdwa v34, v68, v34 dst_sel:DWORD dst_unused:UNUSED_PAD src0_sel:WORD_1 src1_sel:DWORD
	v_fma_f16 v43, v21, s4, v20
	v_fma_f16 v20, v21, s5, v20
	v_add_f16_e32 v21, v18, v45
	v_fma_f16 v18, v44, -0.5, v18
	v_sub_f16_e32 v44, v23, v22
	v_fma_f16 v34, v68, v117, -v34
	v_fma_f16 v68, v44, s5, v18
	v_fma_f16 v18, v44, s4, v18
	v_add_f16_e32 v44, v46, v23
	v_add_f16_e32 v44, v44, v22
	;; [unrolled: 1-line block ×3, first 2 shown]
	s_waitcnt lgkmcnt(1)
	v_lshrrev_b32_e32 v110, 16, v29
	v_fma_f16 v22, v22, -0.5, v46
	v_sub_f16_e32 v23, v45, v47
	v_add_f16_e32 v46, v48, v50
	s_waitcnt lgkmcnt(0)
	v_lshrrev_b32_e32 v49, 16, v25
	v_mul_f16_sdwa v51, v55, v110 dst_sel:DWORD dst_unused:UNUSED_PAD src0_sel:WORD_1 src1_sel:DWORD
	v_fma_f16 v45, v23, s4, v22
	v_fma_f16 v22, v23, s5, v22
	v_add_f16_e32 v23, v25, v48
	v_fma_f16 v25, v46, -0.5, v25
	v_sub_f16_e32 v46, v24, v27
	v_fma_f16 v51, v55, v29, v51
	v_mul_f16_sdwa v29, v55, v29 dst_sel:DWORD dst_unused:UNUSED_PAD src0_sel:WORD_1 src1_sel:DWORD
	v_add_f16_e32 v21, v21, v47
	v_fma_f16 v47, v46, s5, v25
	v_fma_f16 v25, v46, s4, v25
	v_add_f16_e32 v46, v49, v24
	v_add_f16_e32 v24, v24, v27
	ds_read2_b32 v[31:32], v108 offset0:124 offset1:187
	v_fma_f16 v29, v55, v110, -v29
	v_add_f16_e32 v46, v46, v27
	v_fma_f16 v24, v24, -0.5, v49
	v_sub_f16_e32 v27, v48, v50
	v_add_f16_e32 v49, v51, v52
	v_lshrrev_b32_e32 v54, 16, v26
	v_lshrrev_b32_e32 v113, 16, v30
	;; [unrolled: 1-line block ×3, first 2 shown]
	v_fma_f16 v48, v27, s4, v24
	v_fma_f16 v24, v27, s5, v24
	v_add_f16_e32 v27, v26, v51
	v_fma_f16 v26, v49, -0.5, v26
	v_sub_f16_e32 v49, v29, v28
	v_mul_f16_sdwa v53, v69, v113 dst_sel:DWORD dst_unused:UNUSED_PAD src0_sel:WORD_1 src1_sel:DWORD
	v_mul_f16_sdwa v55, v70, v114 dst_sel:DWORD dst_unused:UNUSED_PAD src0_sel:WORD_1 src1_sel:DWORD
	v_add_f16_e32 v23, v23, v50
	v_fma_f16 v50, v49, s5, v26
	v_fma_f16 v26, v49, s4, v26
	v_add_f16_e32 v49, v54, v29
	v_fma_f16 v53, v69, v30, v53
	v_mul_f16_sdwa v30, v69, v30 dst_sel:DWORD dst_unused:UNUSED_PAD src0_sel:WORD_1 src1_sel:DWORD
	v_fma_f16 v55, v70, v33, v55
	v_mul_f16_sdwa v33, v70, v33 dst_sel:DWORD dst_unused:UNUSED_PAD src0_sel:WORD_1 src1_sel:DWORD
	v_add_f16_e32 v49, v49, v28
	v_add_f16_e32 v28, v29, v28
	v_fma_f16 v30, v69, v113, -v30
	v_fma_f16 v33, v70, v114, -v33
	v_add_f16_e32 v27, v27, v52
	v_fma_f16 v28, v28, -0.5, v54
	v_sub_f16_e32 v29, v51, v52
	v_add_f16_e32 v52, v53, v55
	s_waitcnt lgkmcnt(0)
	v_lshrrev_b32_e32 v112, 16, v31
	v_fma_f16 v51, v29, s4, v28
	v_fma_f16 v28, v29, s5, v28
	v_add_f16_e32 v29, v31, v53
	v_fma_f16 v31, v52, -0.5, v31
	v_sub_f16_e32 v52, v30, v33
	v_fma_f16 v54, v52, s5, v31
	v_fma_f16 v31, v52, s4, v31
	v_add_f16_e32 v52, v112, v30
	v_add_f16_e32 v30, v30, v33
	ds_read2_b32 v[37:38], v99 offset0:122 offset1:185
	v_add_f16_e32 v29, v29, v55
	v_add_f16_e32 v52, v52, v33
	v_fma_f16 v30, v30, -0.5, v112
	v_sub_f16_e32 v33, v53, v55
	v_add_f16_e32 v55, v56, v57
	v_lshrrev_b32_e32 v115, 16, v32
	v_fma_f16 v53, v33, s4, v30
	v_fma_f16 v30, v33, s5, v30
	v_add_f16_e32 v33, v32, v56
	v_fma_f16 v32, v55, -0.5, v32
	v_sub_f16_e32 v55, v35, v34
	v_fma_f16 v69, v55, s5, v32
	v_fma_f16 v32, v55, s4, v32
	v_add_f16_e32 v55, v115, v35
	v_add_f16_e32 v55, v55, v34
	;; [unrolled: 1-line block ×4, first 2 shown]
	v_fma_f16 v34, v34, -0.5, v115
	v_sub_f16_e32 v35, v56, v57
	v_add_f16_e32 v57, v58, v59
	s_waitcnt lgkmcnt(0)
	v_lshrrev_b32_e32 v118, 16, v37
	v_fma_f16 v56, v35, s4, v34
	v_fma_f16 v34, v35, s5, v34
	v_add_f16_e32 v35, v37, v58
	v_fma_f16 v37, v57, -0.5, v37
	v_sub_f16_e32 v57, v36, v39
	v_fma_f16 v70, v57, s5, v37
	v_fma_f16 v37, v57, s4, v37
	v_add_f16_e32 v57, v118, v36
	v_add_f16_e32 v36, v36, v39
	;; [unrolled: 1-line block ×4, first 2 shown]
	v_fma_f16 v36, v36, -0.5, v118
	v_sub_f16_e32 v39, v58, v59
	v_add_f16_e32 v59, v60, v63
	v_lshrrev_b32_e32 v121, 16, v38
	v_fma_f16 v58, v39, s4, v36
	v_fma_f16 v36, v39, s5, v36
	v_add_f16_e32 v39, v38, v60
	v_fma_f16 v38, v59, -0.5, v38
	v_sub_f16_e32 v59, v41, v40
	v_fma_f16 v110, v59, s5, v38
	v_fma_f16 v38, v59, s4, v38
	v_add_f16_e32 v59, v121, v41
	v_add_f16_e32 v59, v59, v40
	;; [unrolled: 1-line block ×4, first 2 shown]
	v_fma_f16 v40, v40, -0.5, v121
	v_sub_f16_e32 v41, v60, v63
	v_add_f16_e32 v63, v64, v61
	v_lshrrev_b32_e32 v154, 16, v19
	v_fma_f16 v60, v41, s4, v40
	v_fma_f16 v40, v41, s5, v40
	v_add_f16_e32 v41, v19, v64
	v_fma_f16 v19, v63, -0.5, v19
	v_sub_f16_e32 v63, v42, v62
	v_fma_f16 v111, v63, s5, v19
	v_fma_f16 v19, v63, s4, v19
	v_add_f16_e32 v63, v154, v42
	v_add_f16_e32 v42, v42, v62
	;; [unrolled: 1-line block ×3, first 2 shown]
	v_fma_f16 v42, v42, -0.5, v154
	v_sub_f16_e32 v61, v64, v61
	v_pack_b32_f16 v17, v17, v20
	v_add_f16_e32 v63, v63, v62
	v_fma_f16 v62, v61, s4, v42
	v_fma_f16 v42, v61, s5, v42
	s_waitcnt lgkmcnt(0)
	; wave barrier
	v_pack_b32_f16 v61, v65, v66
	v_pack_b32_f16 v43, v67, v43
	ds_write_b32 v158, v17 offset:216
	v_pack_b32_f16 v17, v21, v44
	v_pack_b32_f16 v20, v68, v45
	ds_write2_b32 v158, v61, v43 offset1:27
	ds_write2_b32 v167, v17, v20 offset1:27
	v_pack_b32_f16 v17, v18, v22
	ds_write_b32 v167, v17 offset:216
	v_pack_b32_f16 v17, v23, v46
	v_pack_b32_f16 v18, v47, v48
	ds_write2_b32 v175, v17, v18 offset1:27
	v_pack_b32_f16 v17, v25, v24
	ds_write_b32 v175, v17 offset:216
	v_pack_b32_f16 v17, v27, v49
	v_pack_b32_f16 v18, v50, v51
	;; [unrolled: 5-line block ×7, first 2 shown]
	ds_write2_b32 v188, v17, v18 offset1:27
	v_pack_b32_f16 v17, v19, v42
	ds_write_b32 v188, v17 offset:216
	s_waitcnt lgkmcnt(0)
	; wave barrier
	s_waitcnt lgkmcnt(0)
	ds_read2_b32 v[17:18], v123 offset1:63
	ds_read2_b32 v[21:22], v101 offset0:120 offset1:183
	ds_read2_b32 v[19:20], v100 offset0:110 offset1:173
	ds_read2_b32 v[23:24], v102 offset0:118 offset1:181
	ds_read2_b32 v[29:30], v107 offset0:116 offset1:179
	ds_read2_b32 v[27:28], v103 offset0:108 offset1:171
	s_waitcnt lgkmcnt(4)
	v_lshrrev_b32_e32 v44, 16, v22
	v_mul_f16_sdwa v107, v71, v44 dst_sel:DWORD dst_unused:UNUSED_PAD src0_sel:WORD_1 src1_sel:DWORD
	s_waitcnt lgkmcnt(3)
	v_lshrrev_b32_e32 v45, 16, v19
	v_fma_f16 v107, v71, v22, v107
	v_mul_f16_sdwa v22, v71, v22 dst_sel:DWORD dst_unused:UNUSED_PAD src0_sel:WORD_1 src1_sel:DWORD
	v_fma_f16 v22, v71, v44, -v22
	v_mul_f16_sdwa v44, v72, v45 dst_sel:DWORD dst_unused:UNUSED_PAD src0_sel:WORD_1 src1_sel:DWORD
	s_waitcnt lgkmcnt(2)
	v_lshrrev_b32_e32 v47, 16, v23
	v_fma_f16 v44, v72, v19, v44
	v_mul_f16_sdwa v19, v72, v19 dst_sel:DWORD dst_unused:UNUSED_PAD src0_sel:WORD_1 src1_sel:DWORD
	v_fma_f16 v19, v72, v45, -v19
	v_mul_f16_sdwa v45, v75, v47 dst_sel:DWORD dst_unused:UNUSED_PAD src0_sel:WORD_1 src1_sel:DWORD
	v_lshrrev_b32_e32 v48, 16, v20
	v_fma_f16 v45, v75, v23, v45
	v_mul_f16_sdwa v23, v75, v23 dst_sel:DWORD dst_unused:UNUSED_PAD src0_sel:WORD_1 src1_sel:DWORD
	v_fma_f16 v23, v75, v47, -v23
	v_mul_f16_sdwa v47, v76, v48 dst_sel:DWORD dst_unused:UNUSED_PAD src0_sel:WORD_1 src1_sel:DWORD
	;; [unrolled: 5-line block ×3, first 2 shown]
	s_waitcnt lgkmcnt(0)
	v_lshrrev_b32_e32 v51, 16, v27
	v_fma_f16 v48, v85, v24, v48
	v_mul_f16_sdwa v24, v85, v24 dst_sel:DWORD dst_unused:UNUSED_PAD src0_sel:WORD_1 src1_sel:DWORD
	v_fma_f16 v24, v85, v50, -v24
	v_mul_f16_sdwa v50, v86, v51 dst_sel:DWORD dst_unused:UNUSED_PAD src0_sel:WORD_1 src1_sel:DWORD
	v_lshrrev_b32_e32 v53, 16, v29
	v_fma_f16 v50, v86, v27, v50
	v_mul_f16_sdwa v27, v86, v27 dst_sel:DWORD dst_unused:UNUSED_PAD src0_sel:WORD_1 src1_sel:DWORD
	ds_read2_b32 v[33:34], v104 offset0:106 offset1:169
	v_fma_f16 v27, v86, v51, -v27
	v_mul_f16_sdwa v51, v81, v53 dst_sel:DWORD dst_unused:UNUSED_PAD src0_sel:WORD_1 src1_sel:DWORD
	v_lshrrev_b32_e32 v54, 16, v28
	v_fma_f16 v51, v81, v29, v51
	v_mul_f16_sdwa v29, v81, v29 dst_sel:DWORD dst_unused:UNUSED_PAD src0_sel:WORD_1 src1_sel:DWORD
	ds_read2_b32 v[35:36], v105 offset0:114 offset1:177
	v_fma_f16 v29, v81, v53, -v29
	v_mul_f16_sdwa v53, v82, v54 dst_sel:DWORD dst_unused:UNUSED_PAD src0_sel:WORD_1 src1_sel:DWORD
	v_lshrrev_b32_e32 v56, 16, v30
	v_fma_f16 v53, v82, v28, v53
	v_mul_f16_sdwa v28, v82, v28 dst_sel:DWORD dst_unused:UNUSED_PAD src0_sel:WORD_1 src1_sel:DWORD
	v_fma_f16 v28, v82, v54, -v28
	v_mul_f16_sdwa v54, v89, v56 dst_sel:DWORD dst_unused:UNUSED_PAD src0_sel:WORD_1 src1_sel:DWORD
	s_waitcnt lgkmcnt(1)
	v_lshrrev_b32_e32 v57, 16, v33
	v_fma_f16 v54, v89, v30, v54
	v_mul_f16_sdwa v30, v89, v30 dst_sel:DWORD dst_unused:UNUSED_PAD src0_sel:WORD_1 src1_sel:DWORD
	v_fma_f16 v30, v89, v56, -v30
	v_mul_f16_sdwa v56, v90, v57 dst_sel:DWORD dst_unused:UNUSED_PAD src0_sel:WORD_1 src1_sel:DWORD
	s_waitcnt lgkmcnt(0)
	v_lshrrev_b32_e32 v59, 16, v35
	v_fma_f16 v56, v90, v33, v56
	v_mul_f16_sdwa v33, v90, v33 dst_sel:DWORD dst_unused:UNUSED_PAD src0_sel:WORD_1 src1_sel:DWORD
	ds_read2_b32 v[39:40], v109 offset0:104 offset1:167
	v_fma_f16 v33, v90, v57, -v33
	v_mul_f16_sdwa v57, v87, v59 dst_sel:DWORD dst_unused:UNUSED_PAD src0_sel:WORD_1 src1_sel:DWORD
	v_lshrrev_b32_e32 v60, 16, v34
	v_fma_f16 v57, v87, v35, v57
	v_mul_f16_sdwa v35, v87, v35 dst_sel:DWORD dst_unused:UNUSED_PAD src0_sel:WORD_1 src1_sel:DWORD
	ds_read2_b32 v[41:42], v106 offset0:112 offset1:175
	v_fma_f16 v35, v87, v59, -v35
	v_mul_f16_sdwa v59, v88, v60 dst_sel:DWORD dst_unused:UNUSED_PAD src0_sel:WORD_1 src1_sel:DWORD
	v_lshrrev_b32_e32 v62, 16, v36
	v_fma_f16 v59, v88, v34, v59
	v_mul_f16_sdwa v34, v88, v34 dst_sel:DWORD dst_unused:UNUSED_PAD src0_sel:WORD_1 src1_sel:DWORD
	v_fma_f16 v34, v88, v60, -v34
	v_mul_f16_sdwa v60, v83, v62 dst_sel:DWORD dst_unused:UNUSED_PAD src0_sel:WORD_1 src1_sel:DWORD
	s_waitcnt lgkmcnt(1)
	v_lshrrev_b32_e32 v63, 16, v39
	v_fma_f16 v60, v83, v36, v60
	v_mul_f16_sdwa v36, v83, v36 dst_sel:DWORD dst_unused:UNUSED_PAD src0_sel:WORD_1 src1_sel:DWORD
	v_fma_f16 v36, v83, v62, -v36
	v_mul_f16_sdwa v62, v84, v63 dst_sel:DWORD dst_unused:UNUSED_PAD src0_sel:WORD_1 src1_sel:DWORD
	s_waitcnt lgkmcnt(0)
	v_lshrrev_b32_e32 v66, 16, v41
	v_fma_f16 v62, v84, v39, v62
	v_mul_f16_sdwa v39, v84, v39 dst_sel:DWORD dst_unused:UNUSED_PAD src0_sel:WORD_1 src1_sel:DWORD
	ds_read_b32 v65, v123 offset:6552
	v_fma_f16 v39, v84, v63, -v39
	v_mul_f16_sdwa v63, v79, v66 dst_sel:DWORD dst_unused:UNUSED_PAD src0_sel:WORD_1 src1_sel:DWORD
	v_lshrrev_b32_e32 v67, 16, v40
	v_fma_f16 v63, v79, v41, v63
	v_mul_f16_sdwa v41, v79, v41 dst_sel:DWORD dst_unused:UNUSED_PAD src0_sel:WORD_1 src1_sel:DWORD
	v_fma_f16 v41, v79, v66, -v41
	v_mul_f16_sdwa v66, v80, v67 dst_sel:DWORD dst_unused:UNUSED_PAD src0_sel:WORD_1 src1_sel:DWORD
	v_lshrrev_b32_e32 v69, 16, v42
	v_fma_f16 v66, v80, v40, v66
	v_mul_f16_sdwa v40, v80, v40 dst_sel:DWORD dst_unused:UNUSED_PAD src0_sel:WORD_1 src1_sel:DWORD
	v_fma_f16 v40, v80, v67, -v40
	v_mul_f16_sdwa v67, v77, v69 dst_sel:DWORD dst_unused:UNUSED_PAD src0_sel:WORD_1 src1_sel:DWORD
	s_waitcnt lgkmcnt(0)
	v_lshrrev_b32_e32 v70, 16, v65
	v_fma_f16 v67, v77, v42, v67
	v_mul_f16_sdwa v42, v77, v42 dst_sel:DWORD dst_unused:UNUSED_PAD src0_sel:WORD_1 src1_sel:DWORD
	v_fma_f16 v42, v77, v69, -v42
	v_mul_f16_sdwa v69, v78, v70 dst_sel:DWORD dst_unused:UNUSED_PAD src0_sel:WORD_1 src1_sel:DWORD
	v_fma_f16 v69, v78, v65, v69
	v_mul_f16_sdwa v65, v78, v65 dst_sel:DWORD dst_unused:UNUSED_PAD src0_sel:WORD_1 src1_sel:DWORD
	v_add_f16_e32 v71, v107, v44
	v_lshrrev_b32_e32 v43, 16, v17
	v_fma_f16 v65, v78, v70, -v65
	v_add_f16_e32 v70, v17, v107
	v_fma_f16 v17, v71, -0.5, v17
	v_sub_f16_e32 v71, v22, v19
	v_fma_f16 v72, v71, s5, v17
	v_fma_f16 v71, v71, s4, v17
	v_add_f16_e32 v17, v43, v22
	v_add_f16_e32 v75, v17, v19
	v_add_f16_e32 v17, v22, v19
	v_fma_f16 v17, v17, -0.5, v43
	v_sub_f16_e32 v19, v107, v44
	v_fma_f16 v76, v19, s4, v17
	v_fma_f16 v77, v19, s5, v17
	v_add_f16_e32 v17, v18, v45
	ds_read2_b32 v[25:26], v123 offset0:126 offset1:189
	v_add_f16_e32 v78, v17, v47
	v_add_f16_e32 v17, v45, v47
	v_lshrrev_b32_e32 v46, 16, v18
	v_fma_f16 v17, v17, -0.5, v18
	v_sub_f16_e32 v18, v23, v20
	v_fma_f16 v79, v18, s5, v17
	v_fma_f16 v80, v18, s4, v17
	v_add_f16_e32 v17, v46, v23
	v_add_f16_e32 v81, v17, v20
	v_add_f16_e32 v17, v23, v20
	v_fma_f16 v17, v17, -0.5, v46
	v_sub_f16_e32 v18, v45, v47
	v_fma_f16 v23, v18, s4, v17
	v_fma_f16 v82, v18, s5, v17
	s_waitcnt lgkmcnt(0)
	v_add_f16_e32 v17, v25, v48
	v_add_f16_e32 v83, v17, v50
	v_add_f16_e32 v17, v48, v50
	v_lshrrev_b32_e32 v49, 16, v25
	v_fma_f16 v17, v17, -0.5, v25
	v_sub_f16_e32 v18, v24, v27
	v_fma_f16 v25, v18, s5, v17
	v_fma_f16 v84, v18, s4, v17
	v_add_f16_e32 v17, v49, v24
	v_add_f16_e32 v85, v17, v27
	v_add_f16_e32 v17, v24, v27
	v_fma_f16 v17, v17, -0.5, v49
	v_sub_f16_e32 v18, v48, v50
	v_fma_f16 v24, v18, s4, v17
	v_fma_f16 v27, v18, s5, v17
	v_add_f16_e32 v17, v26, v51
	ds_read2_b32 v[31:32], v108 offset0:124 offset1:187
	v_add_f16_e32 v49, v17, v53
	v_add_f16_e32 v17, v51, v53
	v_lshrrev_b32_e32 v52, 16, v26
	v_fma_f16 v17, v17, -0.5, v26
	v_sub_f16_e32 v18, v29, v28
	v_fma_f16 v26, v18, s5, v17
	v_fma_f16 v50, v18, s4, v17
	v_add_f16_e32 v17, v52, v29
	v_add_f16_e32 v86, v17, v28
	v_add_f16_e32 v17, v29, v28
	v_fma_f16 v17, v17, -0.5, v52
	v_sub_f16_e32 v18, v51, v53
	v_fma_f16 v28, v18, s4, v17
	v_fma_f16 v29, v18, s5, v17
	s_waitcnt lgkmcnt(0)
	v_add_f16_e32 v17, v31, v54
	v_add_f16_e32 v51, v17, v56
	v_add_f16_e32 v17, v54, v56
	v_lshrrev_b32_e32 v55, 16, v31
	;; [unrolled: 32-line block ×3, first 2 shown]
	v_fma_f16 v17, v17, -0.5, v37
	v_sub_f16_e32 v18, v36, v39
	v_fma_f16 v37, v18, s5, v17
	v_fma_f16 v58, v18, s4, v17
	v_add_f16_e32 v17, v61, v36
	v_add_f16_e32 v59, v17, v39
	v_add_f16_e32 v17, v36, v39
	v_fma_f16 v17, v17, -0.5, v61
	v_sub_f16_e32 v18, v60, v62
	v_fma_f16 v36, v18, s4, v17
	v_fma_f16 v39, v18, s5, v17
	v_add_f16_e32 v18, v63, v66
	v_lshrrev_b32_e32 v64, 16, v38
	v_fma_f16 v19, v18, -0.5, v38
	v_sub_f16_e32 v20, v41, v40
	v_fma_f16 v18, v20, s5, v19
	v_fma_f16 v19, v20, s4, v19
	v_add_f16_e32 v20, v64, v41
	v_add_f16_e32 v43, v20, v40
	;; [unrolled: 1-line block ×3, first 2 shown]
	v_fma_f16 v20, v20, -0.5, v64
	v_sub_f16_e32 v22, v63, v66
	v_add_f16_e32 v70, v70, v44
	v_fma_f16 v45, v22, s4, v20
	v_fma_f16 v44, v22, s5, v20
	v_add_f16_e32 v22, v67, v69
	v_lshrrev_b32_e32 v68, 16, v21
	v_add_f16_e32 v17, v38, v63
	v_fma_f16 v22, v22, -0.5, v21
	v_sub_f16_e32 v38, v42, v65
	v_add_f16_e32 v20, v21, v67
	v_fma_f16 v21, v38, s5, v22
	v_fma_f16 v22, v38, s4, v22
	v_add_f16_e32 v38, v68, v42
	v_add_f16_e32 v46, v38, v65
	;; [unrolled: 1-line block ×3, first 2 shown]
	v_fma_f16 v38, v38, -0.5, v68
	v_sub_f16_e32 v40, v67, v69
	v_fma_f16 v48, v40, s4, v38
	v_fma_f16 v47, v40, s5, v38
	v_pack_b32_f16 v38, v70, v75
	v_pack_b32_f16 v40, v72, v76
	s_waitcnt lgkmcnt(0)
	; wave barrier
	ds_write2_b32 v123, v38, v40 offset1:81
	v_pack_b32_f16 v38, v71, v77
	ds_write_b32 v123, v38 offset:648
	v_pack_b32_f16 v38, v78, v81
	v_pack_b32_f16 v23, v79, v23
	ds_write2_b32 v189, v38, v23 offset1:81
	v_pack_b32_f16 v23, v80, v82
	ds_write_b32 v189, v23 offset:648
	v_pack_b32_f16 v23, v83, v85
	v_pack_b32_f16 v24, v25, v24
	;; [unrolled: 5-line block ×4, first 2 shown]
	v_add_u32_e32 v25, 0xa00, v192
	ds_write2_b32 v25, v23, v24 offset0:89 offset1:170
	v_pack_b32_f16 v23, v52, v33
	ds_write_b32 v192, v23 offset:3564
	v_pack_b32_f16 v23, v54, v56
	v_pack_b32_f16 v24, v32, v34
	ds_write2_b32 v193, v23, v24 offset1:81
	v_pack_b32_f16 v23, v55, v35
	ds_write_b32 v193, v23 offset:648
	v_pack_b32_f16 v23, v57, v59
	v_pack_b32_f16 v24, v37, v36
	v_add_f16_e32 v17, v17, v66
	ds_write2_b32 v194, v23, v24 offset1:81
	v_pack_b32_f16 v23, v58, v39
	ds_write_b32 v194, v23 offset:648
	v_pack_b32_f16 v23, v17, v43
	v_pack_b32_f16 v24, v18, v45
	v_add_f16_e32 v20, v20, v69
	ds_write2_b32 v195, v23, v24 offset1:81
	v_pack_b32_f16 v23, v19, v44
	ds_write_b32 v195, v23 offset:648
	v_pack_b32_f16 v23, v20, v46
	v_pack_b32_f16 v24, v21, v48
	v_add_u32_e32 v25, 0x1600, v196
	ds_write2_b32 v25, v23, v24 offset0:50 offset1:131
	v_pack_b32_f16 v23, v22, v47
	ds_write_b32 v196, v23 offset:6480
	s_waitcnt lgkmcnt(0)
	; wave barrier
	s_waitcnt lgkmcnt(0)
	ds_read2_b32 v[25:26], v123 offset1:63
	ds_read2_b32 v[23:24], v123 offset0:126 offset1:243
	ds_read2_b32 v[41:42], v101 offset0:102 offset1:165
	;; [unrolled: 1-line block ×9, first 2 shown]
	ds_read_b32 v49, v123 offset:6336
	s_and_saveexec_b64 s[4:5], s[0:1]
	s_cbranch_execz .LBB0_7
; %bb.6:
	v_add_u32_e32 v17, 0x2e0, v123
	v_add_u32_e32 v19, 0xa80, v123
	ds_read2_b32 v[17:18], v17 offset0:5 offset1:248
	ds_read2_b32 v[19:20], v19 offset0:3 offset1:246
	ds_read2_b32 v[21:22], v103 offset0:9 offset1:252
	ds_read_b32 v97, v123 offset:6588
	s_waitcnt lgkmcnt(2)
	v_lshrrev_b32_e32 v44, 16, v19
	v_lshrrev_b32_e32 v43, 16, v17
	;; [unrolled: 1-line block ×4, first 2 shown]
	s_waitcnt lgkmcnt(1)
	v_lshrrev_b32_e32 v48, 16, v21
	v_lshrrev_b32_e32 v47, 16, v22
	s_waitcnt lgkmcnt(0)
	v_lshrrev_b32_e32 v98, 16, v97
.LBB0_7:
	s_or_b64 exec, exec, s[4:5]
	s_waitcnt lgkmcnt(9)
	v_lshrrev_b32_e32 v50, 16, v24
	v_mul_f16_sdwa v68, v4, v50 dst_sel:DWORD dst_unused:UNUSED_PAD src0_sel:WORD_1 src1_sel:DWORD
	s_waitcnt lgkmcnt(8)
	v_lshrrev_b32_e32 v51, 16, v41
	v_fma_f16 v68, v4, v24, v68
	v_mul_f16_sdwa v24, v4, v24 dst_sel:DWORD dst_unused:UNUSED_PAD src0_sel:WORD_1 src1_sel:DWORD
	v_fma_f16 v4, v4, v50, -v24
	v_mul_f16_sdwa v24, v5, v51 dst_sel:DWORD dst_unused:UNUSED_PAD src0_sel:WORD_1 src1_sel:DWORD
	s_waitcnt lgkmcnt(3)
	v_lshrrev_b32_e32 v56, 16, v35
	v_fma_f16 v24, v5, v41, v24
	v_mul_f16_sdwa v41, v5, v41 dst_sel:DWORD dst_unused:UNUSED_PAD src0_sel:WORD_1 src1_sel:DWORD
	v_lshrrev_b32_e32 v52, 16, v30
	v_fma_f16 v5, v5, v51, -v41
	v_mul_f16_sdwa v51, v8, v56 dst_sel:DWORD dst_unused:UNUSED_PAD src0_sel:WORD_1 src1_sel:DWORD
	v_lshrrev_b32_e32 v57, 16, v42
	v_mul_f16_sdwa v41, v6, v52 dst_sel:DWORD dst_unused:UNUSED_PAD src0_sel:WORD_1 src1_sel:DWORD
	v_fma_f16 v51, v8, v35, v51
	v_mul_f16_sdwa v35, v8, v35 dst_sel:DWORD dst_unused:UNUSED_PAD src0_sel:WORD_1 src1_sel:DWORD
	v_lshrrev_b32_e32 v53, 16, v39
	v_fma_f16 v41, v6, v30, v41
	v_mul_f16_sdwa v30, v6, v30 dst_sel:DWORD dst_unused:UNUSED_PAD src0_sel:WORD_1 src1_sel:DWORD
	v_fma_f16 v8, v8, v56, -v35
	v_mul_f16_sdwa v35, v9, v57 dst_sel:DWORD dst_unused:UNUSED_PAD src0_sel:WORD_1 src1_sel:DWORD
	s_waitcnt lgkmcnt(2)
	v_lshrrev_b32_e32 v58, 16, v33
	v_fma_f16 v6, v6, v52, -v30
	v_mul_f16_sdwa v30, v7, v53 dst_sel:DWORD dst_unused:UNUSED_PAD src0_sel:WORD_1 src1_sel:DWORD
	v_fma_f16 v35, v9, v42, v35
	v_mul_f16_sdwa v42, v9, v42 dst_sel:DWORD dst_unused:UNUSED_PAD src0_sel:WORD_1 src1_sel:DWORD
	v_lshrrev_b32_e32 v54, 16, v28
	v_lshrrev_b32_e32 v55, 16, v37
	;; [unrolled: 1-line block ×3, first 2 shown]
	v_fma_f16 v30, v7, v39, v30
	v_mul_f16_sdwa v39, v7, v39 dst_sel:DWORD dst_unused:UNUSED_PAD src0_sel:WORD_1 src1_sel:DWORD
	v_fma_f16 v9, v9, v57, -v42
	v_mul_f16_sdwa v42, v10, v58 dst_sel:DWORD dst_unused:UNUSED_PAD src0_sel:WORD_1 src1_sel:DWORD
	v_lshrrev_b32_e32 v59, 16, v40
	v_fma_f16 v7, v7, v53, -v39
	v_mul_f16_sdwa v39, v91, v54 dst_sel:DWORD dst_unused:UNUSED_PAD src0_sel:WORD_1 src1_sel:DWORD
	v_mul_f16_sdwa v50, v92, v55 dst_sel:DWORD dst_unused:UNUSED_PAD src0_sel:WORD_1 src1_sel:DWORD
	v_fma_f16 v42, v10, v33, v42
	v_mul_f16_sdwa v33, v10, v33 dst_sel:DWORD dst_unused:UNUSED_PAD src0_sel:WORD_1 src1_sel:DWORD
	v_mul_f16_sdwa v53, v12, v62 dst_sel:DWORD dst_unused:UNUSED_PAD src0_sel:WORD_1 src1_sel:DWORD
	v_lshrrev_b32_e32 v63, 16, v29
	v_fma_f16 v39, v91, v28, v39
	v_mul_f16_sdwa v28, v91, v28 dst_sel:DWORD dst_unused:UNUSED_PAD src0_sel:WORD_1 src1_sel:DWORD
	v_fma_f16 v50, v92, v37, v50
	v_mul_f16_sdwa v37, v92, v37 dst_sel:DWORD dst_unused:UNUSED_PAD src0_sel:WORD_1 src1_sel:DWORD
	v_fma_f16 v10, v10, v58, -v33
	v_mul_f16_sdwa v33, v11, v59 dst_sel:DWORD dst_unused:UNUSED_PAD src0_sel:WORD_1 src1_sel:DWORD
	v_fma_f16 v53, v12, v36, v53
	v_mul_f16_sdwa v36, v12, v36 dst_sel:DWORD dst_unused:UNUSED_PAD src0_sel:WORD_1 src1_sel:DWORD
	s_waitcnt lgkmcnt(1)
	v_lshrrev_b32_e32 v60, 16, v31
	v_lshrrev_b32_e32 v61, 16, v38
	v_fma_f16 v28, v91, v54, -v28
	v_fma_f16 v37, v92, v55, -v37
	v_fma_f16 v33, v11, v40, v33
	v_mul_f16_sdwa v40, v11, v40 dst_sel:DWORD dst_unused:UNUSED_PAD src0_sel:WORD_1 src1_sel:DWORD
	v_fma_f16 v12, v12, v62, -v36
	v_mul_f16_sdwa v36, v13, v63 dst_sel:DWORD dst_unused:UNUSED_PAD src0_sel:WORD_1 src1_sel:DWORD
	v_lshrrev_b32_e32 v64, 16, v34
	v_fma_f16 v11, v11, v59, -v40
	v_mul_f16_sdwa v40, v93, v60 dst_sel:DWORD dst_unused:UNUSED_PAD src0_sel:WORD_1 src1_sel:DWORD
	v_mul_f16_sdwa v52, v94, v61 dst_sel:DWORD dst_unused:UNUSED_PAD src0_sel:WORD_1 src1_sel:DWORD
	v_fma_f16 v36, v13, v29, v36
	v_mul_f16_sdwa v29, v13, v29 dst_sel:DWORD dst_unused:UNUSED_PAD src0_sel:WORD_1 src1_sel:DWORD
	v_add_f16_e32 v55, v68, v50
	v_add_f16_e32 v56, v4, v37
	v_sub_f16_e32 v4, v4, v37
	v_add_f16_e32 v37, v24, v39
	v_add_f16_e32 v57, v5, v28
	v_fma_f16 v40, v93, v31, v40
	v_mul_f16_sdwa v31, v93, v31 dst_sel:DWORD dst_unused:UNUSED_PAD src0_sel:WORD_1 src1_sel:DWORD
	v_fma_f16 v52, v94, v38, v52
	v_mul_f16_sdwa v38, v94, v38 dst_sel:DWORD dst_unused:UNUSED_PAD src0_sel:WORD_1 src1_sel:DWORD
	v_fma_f16 v13, v13, v63, -v29
	v_mul_f16_sdwa v29, v14, v64 dst_sel:DWORD dst_unused:UNUSED_PAD src0_sel:WORD_1 src1_sel:DWORD
	v_sub_f16_e32 v50, v68, v50
	v_sub_f16_e32 v24, v24, v39
	;; [unrolled: 1-line block ×3, first 2 shown]
	v_add_f16_e32 v28, v41, v30
	v_add_f16_e32 v39, v6, v7
	v_sub_f16_e32 v30, v30, v41
	v_sub_f16_e32 v6, v7, v6
	v_add_f16_e32 v7, v37, v55
	v_add_f16_e32 v41, v57, v56
	v_fma_f16 v31, v93, v60, -v31
	v_fma_f16 v38, v94, v61, -v38
	v_fma_f16 v29, v14, v34, v29
	v_mul_f16_sdwa v34, v14, v34 dst_sel:DWORD dst_unused:UNUSED_PAD src0_sel:WORD_1 src1_sel:DWORD
	v_sub_f16_e32 v58, v37, v55
	v_sub_f16_e32 v59, v57, v56
	;; [unrolled: 1-line block ×6, first 2 shown]
	v_add_f16_e32 v60, v30, v24
	v_add_f16_e32 v61, v6, v5
	v_sub_f16_e32 v62, v30, v24
	v_sub_f16_e32 v63, v6, v5
	;; [unrolled: 1-line block ×4, first 2 shown]
	v_add_f16_e32 v7, v28, v7
	v_add_f16_e32 v28, v39, v41
	v_fma_f16 v14, v14, v64, -v34
	v_sub_f16_e32 v30, v50, v30
	v_sub_f16_e32 v6, v4, v6
	v_add_f16_e32 v39, v60, v50
	v_add_f16_e32 v4, v61, v4
	;; [unrolled: 1-line block ×3, first 2 shown]
	v_add_f16_sdwa v25, v25, v28 dst_sel:DWORD dst_unused:UNUSED_PAD src0_sel:WORD_1 src1_sel:DWORD
	v_mul_f16_e32 v50, 0x3a52, v55
	v_mul_f16_e32 v55, 0x3a52, v56
	s_movk_i32 s15, 0x2b26
	v_mul_f16_e32 v56, 0x2b26, v37
	v_mul_f16_e32 v60, 0x2b26, v57
	;; [unrolled: 1-line block ×4, first 2 shown]
	s_mov_b32 s6, 0xbb00
	v_mul_f16_e32 v63, 0xbb00, v24
	v_mul_f16_e32 v64, 0xbb00, v5
	s_mov_b32 s16, 0xbcab
	s_mov_b32 s12, 0xb9e0
	;; [unrolled: 1-line block ×3, first 2 shown]
	s_movk_i32 s13, 0x3574
	v_fma_f16 v7, v7, s16, v41
	v_fma_f16 v28, v28, s16, v25
	;; [unrolled: 1-line block ×4, first 2 shown]
	v_fma_f16 v56, v58, s7, -v56
	v_fma_f16 v60, v59, s7, -v60
	;; [unrolled: 1-line block ×4, first 2 shown]
	v_fma_f16 v58, v30, s17, v61
	v_fma_f16 v59, v6, s17, v62
	v_fma_f16 v5, v5, s6, -v62
	v_fma_f16 v30, v30, s13, -v63
	;; [unrolled: 1-line block ×3, first 2 shown]
	s_mov_b32 s14, 0xb70e
	v_fma_f16 v24, v24, s6, -v61
	v_add_f16_e32 v37, v37, v7
	v_add_f16_e32 v57, v57, v28
	;; [unrolled: 1-line block ×6, first 2 shown]
	v_fma_f16 v50, v39, s14, v58
	v_fma_f16 v55, v4, s14, v59
	;; [unrolled: 1-line block ×5, first 2 shown]
	v_lshrrev_b32_e32 v65, 16, v27
	v_fma_f16 v24, v39, s14, v24
	v_add_f16_e32 v6, v55, v37
	v_sub_f16_e32 v39, v57, v50
	v_add_f16_e32 v58, v4, v7
	v_sub_f16_e32 v59, v28, v30
	v_sub_f16_e32 v4, v7, v4
	v_add_f16_e32 v7, v30, v28
	v_sub_f16_e32 v28, v37, v55
	v_add_f16_e32 v30, v50, v57
	v_add_f16_e32 v37, v51, v52
	;; [unrolled: 1-line block ×3, first 2 shown]
	v_sub_f16_e32 v51, v51, v52
	v_sub_f16_e32 v8, v8, v38
	v_add_f16_e32 v38, v35, v40
	v_add_f16_e32 v52, v9, v31
	v_mul_f16_sdwa v34, v15, v65 dst_sel:DWORD dst_unused:UNUSED_PAD src0_sel:WORD_1 src1_sel:DWORD
	v_sub_f16_e32 v35, v35, v40
	v_sub_f16_e32 v9, v9, v31
	v_add_f16_e32 v31, v42, v33
	v_add_f16_e32 v40, v10, v11
	v_sub_f16_e32 v33, v33, v42
	v_sub_f16_e32 v10, v11, v10
	v_add_f16_e32 v11, v38, v37
	v_add_f16_e32 v42, v52, v50
	v_lshrrev_b32_e32 v66, 16, v32
	s_waitcnt lgkmcnt(0)
	v_lshrrev_b32_e32 v67, 16, v49
	v_fma_f16 v34, v15, v27, v34
	v_mul_f16_sdwa v27, v15, v27 dst_sel:DWORD dst_unused:UNUSED_PAD src0_sel:WORD_1 src1_sel:DWORD
	v_sub_f16_e32 v61, v56, v5
	v_add_f16_e32 v62, v24, v60
	v_add_f16_e32 v5, v5, v56
	v_sub_f16_e32 v24, v60, v24
	v_sub_f16_e32 v55, v38, v37
	;; [unrolled: 1-line block ×7, first 2 shown]
	v_add_f16_e32 v57, v33, v35
	v_add_f16_e32 v60, v10, v9
	v_sub_f16_e32 v63, v33, v35
	v_sub_f16_e32 v64, v10, v9
	;; [unrolled: 1-line block ×4, first 2 shown]
	v_add_f16_e32 v11, v31, v11
	v_add_f16_e32 v31, v40, v42
	v_fma_f16 v15, v15, v65, -v27
	v_mul_f16_sdwa v27, v95, v66 dst_sel:DWORD dst_unused:UNUSED_PAD src0_sel:WORD_1 src1_sel:DWORD
	v_mul_f16_sdwa v54, v96, v67 dst_sel:DWORD dst_unused:UNUSED_PAD src0_sel:WORD_1 src1_sel:DWORD
	v_sub_f16_e32 v33, v51, v33
	v_sub_f16_e32 v10, v8, v10
	v_add_f16_e32 v40, v57, v51
	v_add_f16_e32 v8, v60, v8
	;; [unrolled: 1-line block ×3, first 2 shown]
	v_add_f16_sdwa v26, v26, v31 dst_sel:DWORD dst_unused:UNUSED_PAD src0_sel:WORD_1 src1_sel:DWORD
	v_mul_f16_e32 v37, 0x3a52, v37
	v_mul_f16_e32 v50, 0x3a52, v50
	;; [unrolled: 1-line block ×8, first 2 shown]
	v_fma_f16 v27, v95, v32, v27
	v_mul_f16_sdwa v32, v95, v32 dst_sel:DWORD dst_unused:UNUSED_PAD src0_sel:WORD_1 src1_sel:DWORD
	v_fma_f16 v54, v96, v49, v54
	v_mul_f16_sdwa v49, v96, v49 dst_sel:DWORD dst_unused:UNUSED_PAD src0_sel:WORD_1 src1_sel:DWORD
	v_fma_f16 v11, v11, s16, v42
	v_fma_f16 v31, v31, s16, v26
	;; [unrolled: 1-line block ×4, first 2 shown]
	v_fma_f16 v51, v55, s7, -v51
	v_fma_f16 v57, v56, s7, -v57
	;; [unrolled: 1-line block ×4, first 2 shown]
	v_fma_f16 v55, v33, s17, v60
	v_fma_f16 v56, v10, s17, v63
	v_fma_f16 v9, v9, s6, -v63
	v_fma_f16 v33, v33, s13, -v64
	;; [unrolled: 1-line block ×6, first 2 shown]
	v_add_f16_e32 v38, v38, v11
	v_add_f16_e32 v52, v52, v31
	;; [unrolled: 1-line block ×6, first 2 shown]
	v_fma_f16 v37, v40, s14, v55
	v_fma_f16 v50, v8, s14, v56
	;; [unrolled: 1-line block ×5, first 2 shown]
	v_pack_b32_f16 v6, v6, v39
	v_pack_b32_f16 v4, v4, v7
	v_fma_f16 v35, v40, s14, v35
	v_add_f16_e32 v10, v50, v38
	v_sub_f16_e32 v40, v52, v37
	v_add_f16_e32 v55, v8, v11
	v_sub_f16_e32 v56, v31, v33
	v_sub_f16_e32 v60, v51, v9
	v_add_f16_e32 v9, v9, v51
	v_sub_f16_e32 v8, v11, v8
	v_add_f16_e32 v11, v33, v31
	;; [unrolled: 2-line block ×3, first 2 shown]
	v_add_f16_e32 v37, v53, v54
	v_add_f16_e32 v38, v12, v49
	v_sub_f16_e32 v12, v12, v49
	v_add_f16_e32 v49, v36, v27
	v_add_f16_e32 v51, v13, v32
	ds_write_b32 v123, v6 offset:972
	v_pack_b32_f16 v6, v58, v59
	v_pack_b32_f16 v5, v5, v24
	ds_write_b32 v123, v4 offset:4860
	v_pack_b32_f16 v4, v28, v30
	v_add_f16_e32 v63, v35, v57
	v_sub_f16_e32 v27, v36, v27
	v_sub_f16_e32 v13, v13, v32
	v_add_f16_e32 v32, v29, v34
	v_add_f16_e32 v36, v14, v15
	v_sub_f16_e32 v29, v34, v29
	v_sub_f16_e32 v14, v15, v14
	v_add_f16_e32 v15, v49, v37
	v_add_f16_e32 v34, v51, v38
	v_pack_b32_f16 v25, v41, v25
	ds_write_b32 v123, v6 offset:1944
	v_pack_b32_f16 v6, v61, v62
	ds_write_b32 v123, v5 offset:3888
	ds_write_b32 v123, v4 offset:5832
	v_pack_b32_f16 v4, v42, v26
	v_pack_b32_f16 v5, v55, v56
	v_sub_f16_e32 v35, v57, v35
	v_sub_f16_e32 v50, v53, v54
	;; [unrolled: 1-line block ×8, first 2 shown]
	v_add_f16_e32 v54, v29, v27
	v_add_f16_e32 v57, v14, v13
	v_sub_f16_e32 v64, v29, v27
	v_sub_f16_e32 v65, v14, v13
	v_add_f16_e32 v15, v32, v15
	v_add_f16_e32 v32, v36, v34
	ds_write_b32 v123, v6 offset:2916
	ds_write2_b32 v123, v25, v4 offset1:63
	ds_write_b32 v123, v5 offset:2196
	v_pack_b32_f16 v5, v60, v63
	v_sub_f16_e32 v29, v50, v29
	v_sub_f16_e32 v14, v12, v14
	;; [unrolled: 1-line block ×4, first 2 shown]
	v_add_f16_e32 v34, v54, v50
	v_add_f16_e32 v12, v57, v12
	;; [unrolled: 1-line block ×3, first 2 shown]
	v_add_f16_sdwa v23, v23, v32 dst_sel:DWORD dst_unused:UNUSED_PAD src0_sel:WORD_1 src1_sel:DWORD
	v_mul_f16_e32 v37, 0x3a52, v37
	v_mul_f16_e32 v38, 0x3a52, v38
	;; [unrolled: 1-line block ×6, first 2 shown]
	ds_write_b32 v123, v5 offset:3168
	v_pack_b32_f16 v5, v9, v35
	v_mul_f16_e32 v65, 0xbb00, v27
	v_mul_f16_e32 v66, 0xbb00, v13
	v_fma_f16 v15, v15, s16, v36
	v_fma_f16 v32, v32, s16, v23
	;; [unrolled: 1-line block ×4, first 2 shown]
	v_fma_f16 v50, v52, s7, -v50
	v_fma_f16 v54, v53, s7, -v54
	;; [unrolled: 1-line block ×4, first 2 shown]
	v_fma_f16 v52, v29, s17, v57
	v_fma_f16 v53, v14, s17, v64
	ds_write_b32 v123, v5 offset:4140
	v_pack_b32_f16 v5, v8, v11
	v_fma_f16 v27, v27, s6, -v57
	v_fma_f16 v13, v13, s6, -v64
	;; [unrolled: 1-line block ×4, first 2 shown]
	v_add_f16_e32 v49, v49, v15
	v_add_f16_e32 v51, v51, v32
	;; [unrolled: 1-line block ×6, first 2 shown]
	v_fma_f16 v37, v34, s14, v52
	v_fma_f16 v38, v12, s14, v53
	ds_write_b32 v123, v5 offset:5112
	v_pack_b32_f16 v5, v31, v33
	v_fma_f16 v27, v34, s14, v27
	v_fma_f16 v13, v12, s14, v13
	;; [unrolled: 1-line block ×4, first 2 shown]
	v_add_f16_e32 v14, v38, v49
	v_sub_f16_e32 v34, v51, v37
	ds_write_b32 v123, v5 offset:6084
	v_pack_b32_f16 v5, v36, v23
	v_add_f16_e32 v52, v12, v15
	v_sub_f16_e32 v53, v32, v29
	v_pack_b32_f16 v4, v10, v40
	ds_write_b32 v123, v5 offset:504
	v_pack_b32_f16 v5, v14, v34
	v_sub_f16_e32 v57, v50, v13
	v_add_f16_e32 v64, v27, v54
	ds_write2_b32 v99, v4, v5 offset0:50 offset1:113
	v_pack_b32_f16 v4, v52, v53
	v_add_f16_e32 v13, v13, v50
	v_sub_f16_e32 v27, v54, v27
	ds_write_b32 v123, v4 offset:2448
	v_pack_b32_f16 v4, v57, v64
	v_sub_f16_e32 v12, v15, v12
	v_add_f16_e32 v15, v29, v32
	ds_write_b32 v123, v4 offset:3420
	v_pack_b32_f16 v4, v13, v27
	v_sub_f16_e32 v29, v49, v38
	v_add_f16_e32 v32, v37, v51
	ds_write_b32 v123, v4 offset:4392
	v_pack_b32_f16 v4, v12, v15
	ds_write_b32 v123, v4 offset:5364
	v_pack_b32_f16 v4, v29, v32
	ds_write_b32 v123, v4 offset:6336
	s_and_saveexec_b64 s[4:5], s[0:1]
	s_cbranch_execz .LBB0_9
; %bb.8:
	v_mul_f16_sdwa v8, v2, v46 dst_sel:DWORD dst_unused:UNUSED_PAD src0_sel:WORD_1 src1_sel:DWORD
	v_mul_f16_sdwa v4, v0, v45 dst_sel:DWORD dst_unused:UNUSED_PAD src0_sel:WORD_1 src1_sel:DWORD
	v_fma_f16 v8, v2, v20, v8
	v_mul_f16_sdwa v11, v1, v44 dst_sel:DWORD dst_unused:UNUSED_PAD src0_sel:WORD_1 src1_sel:DWORD
	v_mul_f16_sdwa v12, v73, v47 dst_sel:DWORD dst_unused:UNUSED_PAD src0_sel:WORD_1 src1_sel:DWORD
	;; [unrolled: 1-line block ×3, first 2 shown]
	v_fma_f16 v4, v0, v18, v4
	v_mul_f16_sdwa v5, v74, v98 dst_sel:DWORD dst_unused:UNUSED_PAD src0_sel:WORD_1 src1_sel:DWORD
	v_mul_f16_sdwa v7, v3, v48 dst_sel:DWORD dst_unused:UNUSED_PAD src0_sel:WORD_1 src1_sel:DWORD
	v_fma_f16 v11, v1, v19, v11
	v_fma_f16 v12, v73, v22, v12
	v_mul_f16_sdwa v23, v74, v97 dst_sel:DWORD dst_unused:UNUSED_PAD src0_sel:WORD_1 src1_sel:DWORD
	v_mul_f16_sdwa v18, v0, v18 dst_sel:DWORD dst_unused:UNUSED_PAD src0_sel:WORD_1 src1_sel:DWORD
	v_fma_f16 v2, v2, v46, -v20
	v_mul_f16_sdwa v20, v3, v21 dst_sel:DWORD dst_unused:UNUSED_PAD src0_sel:WORD_1 src1_sel:DWORD
	v_mul_f16_sdwa v22, v73, v22 dst_sel:DWORD dst_unused:UNUSED_PAD src0_sel:WORD_1 src1_sel:DWORD
	v_mul_f16_sdwa v19, v1, v19 dst_sel:DWORD dst_unused:UNUSED_PAD src0_sel:WORD_1 src1_sel:DWORD
	v_fma_f16 v5, v74, v97, v5
	v_fma_f16 v7, v3, v21, v7
	v_fma_f16 v23, v74, v98, -v23
	v_fma_f16 v0, v0, v45, -v18
	;; [unrolled: 1-line block ×5, first 2 shown]
	v_sub_f16_e32 v6, v4, v5
	v_sub_f16_e32 v9, v7, v8
	;; [unrolled: 1-line block ×3, first 2 shown]
	v_add_f16_e32 v18, v23, v0
	v_add_f16_e32 v20, v2, v3
	;; [unrolled: 1-line block ×3, first 2 shown]
	v_sub_f16_e32 v0, v0, v23
	v_sub_f16_e32 v2, v3, v2
	;; [unrolled: 1-line block ×5, first 2 shown]
	v_add_f16_e32 v9, v9, v13
	v_add_f16_e32 v4, v5, v4
	v_add_f16_e32 v5, v8, v7
	v_add_f16_e32 v8, v12, v11
	v_sub_f16_e32 v3, v0, v2
	v_sub_f16_e32 v22, v2, v1
	v_add_f16_e32 v2, v2, v1
	v_add_f16_e32 v9, v9, v6
	;; [unrolled: 1-line block ×5, first 2 shown]
	v_sub_f16_e32 v6, v13, v6
	v_sub_f16_e32 v0, v1, v0
	v_mul_f16_e32 v14, 0x3846, v14
	v_sub_f16_e32 v21, v18, v20
	v_sub_f16_e32 v24, v20, v19
	v_add_f16_e32 v20, v20, v26
	v_sub_f16_e32 v7, v4, v5
	v_sub_f16_e32 v11, v5, v8
	v_add_f16_e32 v5, v5, v28
	v_mul_f16_e32 v22, 0x3846, v22
	v_mul_f16_e32 v13, 0xbb00, v6
	;; [unrolled: 1-line block ×3, first 2 shown]
	v_fma_f16 v15, v10, s17, v14
	v_mul_f16_e32 v21, 0x3a52, v21
	v_mul_f16_e32 v25, 0x2b26, v24
	v_add_f16_e32 v26, v43, v20
	v_mul_f16_e32 v7, 0x3a52, v7
	v_mul_f16_e32 v12, 0x2b26, v11
	v_add_f16_e32 v17, v17, v5
	v_fma_f16 v23, v3, s17, v22
	v_fma_f16 v10, v10, s13, -v13
	v_sub_f16_e32 v13, v19, v18
	v_sub_f16_e32 v4, v8, v4
	v_fma_f16 v1, v3, s13, -v1
	v_fma_f16 v0, v0, s6, -v22
	v_fma_f16 v24, v24, s15, v21
	v_fma_f16 v20, v20, s16, v26
	;; [unrolled: 1-line block ×5, first 2 shown]
	v_fma_f16 v18, v13, s12, -v21
	v_fma_f16 v7, v4, s12, -v7
	v_fma_f16 v1, v2, s14, v1
	v_fma_f16 v8, v13, s7, -v25
	v_fma_f16 v6, v6, s6, -v14
	v_fma_f16 v0, v2, s14, v0
	v_fma_f16 v2, v4, s7, -v12
	v_fma_f16 v15, v9, s14, v15
	v_add_f16_e32 v24, v24, v20
	v_add_f16_e32 v11, v11, v5
	v_fma_f16 v10, v9, s14, v10
	v_add_f16_e32 v18, v18, v20
	v_add_f16_e32 v7, v7, v5
	;; [unrolled: 1-line block ×3, first 2 shown]
	v_fma_f16 v6, v9, s14, v6
	v_add_f16_e32 v2, v2, v5
	v_sub_f16_e32 v3, v7, v1
	v_sub_f16_e32 v9, v8, v6
	v_add_f16_e32 v4, v0, v2
	v_add_f16_e32 v5, v6, v8
	v_sub_f16_e32 v0, v2, v0
	v_sub_f16_e32 v2, v18, v10
	v_add_f16_e32 v1, v1, v7
	v_sub_f16_e32 v6, v24, v15
	v_add_f16_e32 v7, v23, v11
	v_add_f16_e32 v19, v10, v18
	v_pack_b32_f16 v8, v17, v26
	v_pack_b32_f16 v6, v7, v6
	v_add_u32_e32 v7, 0x2e0, v123
	v_pack_b32_f16 v1, v1, v2
	v_pack_b32_f16 v0, v0, v5
	v_add_u32_e32 v2, 0xa80, v123
	v_add_f16_e32 v27, v15, v24
	v_sub_f16_e32 v28, v11, v23
	ds_write2_b32 v7, v8, v6 offset0:5 offset1:248
	ds_write2_b32 v2, v1, v0 offset0:3 offset1:246
	v_pack_b32_f16 v0, v4, v9
	v_pack_b32_f16 v1, v3, v19
	v_add_u32_e32 v2, 0x1200, v123
	ds_write2_b32 v2, v0, v1 offset0:9 offset1:252
	v_pack_b32_f16 v0, v28, v27
	ds_write_b32 v123, v0 offset:6588
.LBB0_9:
	s_or_b64 exec, exec, s[4:5]
	s_waitcnt lgkmcnt(0)
	; wave barrier
	s_waitcnt lgkmcnt(0)
	ds_read2_b32 v[2:3], v123 offset1:63
	s_mov_b32 s4, 0x9c850ab
	s_mov_b32 s5, 0x3f434393
	v_mad_u64_u32 v[4:5], s[0:1], s10, v16, 0
	s_waitcnt lgkmcnt(0)
	v_lshrrev_b32_e32 v7, 16, v2
	v_mul_f16_sdwa v0, v150, v7 dst_sel:DWORD dst_unused:UNUSED_PAD src0_sel:WORD_1 src1_sel:DWORD
	v_fma_f16 v0, v150, v2, v0
	v_cvt_f32_f16_e32 v0, v0
	s_movk_i32 s6, 0x1ff
	v_mad_u64_u32 v[5:6], s[0:1], s11, v16, v[5:6]
	v_cvt_f64_f32_e32 v[0:1], v0
	s_movk_i32 s7, 0xffe
	v_mul_f16_sdwa v2, v150, v2 dst_sel:DWORD dst_unused:UNUSED_PAD src0_sel:WORD_1 src1_sel:DWORD
	v_fma_f16 v2, v150, v7, -v2
	v_mul_f64 v[0:1], v[0:1], s[4:5]
	v_cvt_f32_f16_e32 v7, v2
	v_mov_b32_e32 v2, 0x7c00
	s_movk_i32 s10, 0x40f
	s_mov_b32 s11, 0x8000
	v_lshlrev_b64 v[4:5], 2, v[4:5]
	v_and_or_b32 v0, v1, s6, v0
	v_cmp_ne_u32_e32 vcc, 0, v0
	v_lshrrev_b32_e32 v6, 8, v1
	v_bfe_u32 v8, v1, 20, 11
	v_cndmask_b32_e64 v0, 0, 1, vcc
	v_sub_u32_e32 v9, 0x3f1, v8
	v_and_or_b32 v0, v6, s7, v0
	v_or_b32_e32 v6, 0x1000, v0
	v_med3_i32 v9, v9, 0, 13
	v_lshrrev_b32_e32 v10, v9, v6
	v_lshlrev_b32_e32 v9, v9, v10
	v_cmp_ne_u32_e32 vcc, v9, v6
	v_cndmask_b32_e64 v6, 0, 1, vcc
	v_add_u32_e32 v8, 0xfffffc10, v8
	v_or_b32_e32 v6, v10, v6
	v_lshl_or_b32 v9, v8, 12, v0
	v_cmp_gt_i32_e32 vcc, 1, v8
	v_cndmask_b32_e32 v6, v9, v6, vcc
	v_and_b32_e32 v9, 7, v6
	v_cmp_lt_i32_e32 vcc, 5, v9
	v_cmp_eq_u32_e64 s[0:1], 3, v9
	v_lshrrev_b32_e32 v6, 2, v6
	s_or_b64 vcc, s[0:1], vcc
	v_addc_co_u32_e32 v9, vcc, 0, v6, vcc
	v_cvt_f64_f32_e32 v[6:7], v7
	v_cmp_gt_i32_e32 vcc, 31, v8
	v_cndmask_b32_e32 v9, v2, v9, vcc
	v_cmp_ne_u32_e32 vcc, 0, v0
	v_mul_f64 v[6:7], v[6:7], s[4:5]
	v_cndmask_b32_e64 v0, 0, 1, vcc
	v_lshl_or_b32 v0, v0, 9, v2
	v_cmp_eq_u32_e32 vcc, s10, v8
	v_cndmask_b32_e32 v0, v9, v0, vcc
	v_lshrrev_b32_e32 v1, 16, v1
	v_and_or_b32 v9, v1, s11, v0
	v_and_b32_e32 v12, 0xffff, v9
	v_and_or_b32 v0, v7, s6, v6
	v_cmp_ne_u32_e32 vcc, 0, v0
	v_cndmask_b32_e64 v0, 0, 1, vcc
	v_lshrrev_b32_e32 v1, 8, v7
	v_bfe_u32 v6, v7, 20, 11
	v_and_or_b32 v0, v1, s7, v0
	v_sub_u32_e32 v8, 0x3f1, v6
	v_or_b32_e32 v1, 0x1000, v0
	v_med3_i32 v8, v8, 0, 13
	v_lshrrev_b32_e32 v10, v8, v1
	v_lshlrev_b32_e32 v8, v8, v10
	v_cmp_ne_u32_e32 vcc, v8, v1
	v_cndmask_b32_e64 v1, 0, 1, vcc
	v_add_u32_e32 v6, 0xfffffc10, v6
	v_or_b32_e32 v1, v10, v1
	v_lshl_or_b32 v8, v6, 12, v0
	v_cmp_gt_i32_e32 vcc, 1, v6
	v_cndmask_b32_e32 v1, v8, v1, vcc
	v_and_b32_e32 v8, 7, v1
	v_cmp_lt_i32_e32 vcc, 5, v8
	v_cmp_eq_u32_e64 s[0:1], 3, v8
	v_lshrrev_b32_e32 v1, 2, v1
	s_or_b64 vcc, s[0:1], vcc
	v_addc_co_u32_e32 v1, vcc, 0, v1, vcc
	v_cmp_gt_i32_e32 vcc, 31, v6
	v_cndmask_b32_e32 v1, v2, v1, vcc
	v_cmp_ne_u32_e32 vcc, 0, v0
	v_cndmask_b32_e64 v0, 0, 1, vcc
	v_lshl_or_b32 v0, v0, 9, v2
	v_cmp_eq_u32_e32 vcc, s10, v6
	v_cndmask_b32_e32 v8, v1, v0, vcc
	v_add_u32_e32 v0, 0x600, v123
	ds_read2_b32 v[0:1], v0 offset0:120 offset1:183
	v_lshrrev_b32_e32 v10, 16, v7
	v_mad_u64_u32 v[6:7], s[0:1], s8, v149, 0
	v_and_or_b32 v10, v10, s11, v8
	s_waitcnt lgkmcnt(0)
	v_lshrrev_b32_e32 v11, 16, v1
	v_mad_u64_u32 v[7:8], s[0:1], s9, v149, v[7:8]
	v_mul_f16_sdwa v8, v148, v11 dst_sel:DWORD dst_unused:UNUSED_PAD src0_sel:WORD_1 src1_sel:DWORD
	v_fma_f16 v8, v148, v1, v8
	v_cvt_f32_f16_e32 v8, v8
	v_lshl_or_b32 v10, v10, 16, v12
	v_mov_b32_e32 v12, s3
	v_add_co_u32_e32 v13, vcc, s2, v4
	v_cvt_f64_f32_e32 v[8:9], v8
	v_addc_co_u32_e32 v12, vcc, v12, v5, vcc
	v_lshlrev_b64 v[4:5], 2, v[6:7]
	v_mul_f64 v[8:9], v[8:9], s[4:5]
	v_add_co_u32_e32 v4, vcc, v13, v4
	v_addc_co_u32_e32 v5, vcc, v12, v5, vcc
	global_store_dword v[4:5], v10, off
	v_mul_f16_sdwa v1, v148, v1 dst_sel:DWORD dst_unused:UNUSED_PAD src0_sel:WORD_1 src1_sel:DWORD
	v_fma_f16 v1, v148, v11, -v1
	v_and_or_b32 v6, v9, s6, v8
	v_cmp_ne_u32_e32 vcc, 0, v6
	v_cndmask_b32_e64 v6, 0, 1, vcc
	v_lshrrev_b32_e32 v7, 8, v9
	v_and_or_b32 v8, v7, s7, v6
	v_bfe_u32 v7, v9, 20, 11
	v_sub_u32_e32 v10, 0x3f1, v7
	v_or_b32_e32 v6, 0x1000, v8
	v_med3_i32 v10, v10, 0, 13
	v_lshrrev_b32_e32 v12, v10, v6
	v_lshlrev_b32_e32 v10, v10, v12
	v_cmp_ne_u32_e32 vcc, v10, v6
	v_cndmask_b32_e64 v6, 0, 1, vcc
	v_add_u32_e32 v10, 0xfffffc10, v7
	v_cvt_f32_f16_e32 v1, v1
	v_or_b32_e32 v6, v12, v6
	v_lshl_or_b32 v7, v10, 12, v8
	v_cmp_gt_i32_e32 vcc, 1, v10
	v_cndmask_b32_e32 v6, v7, v6, vcc
	v_and_b32_e32 v7, 7, v6
	v_cmp_lt_i32_e32 vcc, 5, v7
	v_cmp_eq_u32_e64 s[0:1], 3, v7
	v_lshrrev_b32_e32 v11, 2, v6
	v_cvt_f64_f32_e32 v[6:7], v1
	s_or_b64 vcc, s[0:1], vcc
	v_addc_co_u32_e32 v1, vcc, 0, v11, vcc
	v_mul_f64 v[6:7], v[6:7], s[4:5]
	v_cmp_gt_i32_e32 vcc, 31, v10
	v_cndmask_b32_e32 v1, v2, v1, vcc
	v_cmp_ne_u32_e32 vcc, 0, v8
	v_cndmask_b32_e64 v8, 0, 1, vcc
	v_lshl_or_b32 v8, v8, 9, v2
	v_cmp_eq_u32_e32 vcc, s10, v10
	v_cndmask_b32_e32 v1, v1, v8, vcc
	v_and_or_b32 v6, v7, s6, v6
	v_lshrrev_b32_e32 v8, 16, v9
	v_cmp_ne_u32_e32 vcc, 0, v6
	v_and_or_b32 v1, v8, s11, v1
	v_cndmask_b32_e64 v6, 0, 1, vcc
	v_lshrrev_b32_e32 v8, 8, v7
	v_bfe_u32 v9, v7, 20, 11
	v_and_or_b32 v6, v8, s7, v6
	v_sub_u32_e32 v10, 0x3f1, v9
	v_or_b32_e32 v8, 0x1000, v6
	v_med3_i32 v10, v10, 0, 13
	v_lshrrev_b32_e32 v11, v10, v8
	v_lshlrev_b32_e32 v10, v10, v11
	v_cmp_ne_u32_e32 vcc, v10, v8
	v_cndmask_b32_e64 v8, 0, 1, vcc
	v_add_u32_e32 v10, 0xfffffc10, v9
	v_or_b32_e32 v8, v11, v8
	v_lshl_or_b32 v9, v10, 12, v6
	v_cmp_gt_i32_e32 vcc, 1, v10
	v_cndmask_b32_e32 v8, v9, v8, vcc
	v_and_b32_e32 v9, 7, v8
	v_cmp_lt_i32_e32 vcc, 5, v9
	v_cmp_eq_u32_e64 s[0:1], 3, v9
	v_lshrrev_b32_e32 v8, 2, v8
	s_or_b64 vcc, s[0:1], vcc
	v_addc_co_u32_e32 v8, vcc, 0, v8, vcc
	v_cmp_gt_i32_e32 vcc, 31, v10
	v_cndmask_b32_e32 v11, v2, v8, vcc
	v_add_u32_e32 v8, 0x1000, v123
	ds_read2_b32 v[8:9], v8 offset0:110 offset1:173
	v_cmp_ne_u32_e32 vcc, 0, v6
	v_cndmask_b32_e64 v6, 0, 1, vcc
	v_lshl_or_b32 v6, v6, 9, v2
	v_cmp_eq_u32_e32 vcc, s10, v10
	s_waitcnt lgkmcnt(0)
	v_lshrrev_b32_e32 v10, 16, v8
	v_cndmask_b32_e32 v6, v11, v6, vcc
	v_mul_f16_sdwa v11, v146, v10 dst_sel:DWORD dst_unused:UNUSED_PAD src0_sel:WORD_1 src1_sel:DWORD
	v_fma_f16 v11, v146, v8, v11
	v_cvt_f32_f16_e32 v11, v11
	v_lshrrev_b32_e32 v7, 16, v7
	v_and_or_b32 v6, v7, s11, v6
	v_and_b32_e32 v1, 0xffff, v1
	v_lshl_or_b32 v1, v6, 16, v1
	v_cvt_f64_f32_e32 v[6:7], v11
	s_mul_i32 s0, s9, 0x8dc
	s_mul_hi_u32 s2, s8, 0x8dc
	s_add_i32 s2, s2, s0
	v_mul_f64 v[6:7], v[6:7], s[4:5]
	s_mul_i32 s3, s8, 0x8dc
	v_mov_b32_e32 v11, s2
	v_add_co_u32_e32 v4, vcc, s3, v4
	v_addc_co_u32_e32 v5, vcc, v5, v11, vcc
	global_store_dword v[4:5], v1, off
	v_and_or_b32 v1, v7, s6, v6
	v_cmp_ne_u32_e32 vcc, 0, v1
	v_cndmask_b32_e64 v1, 0, 1, vcc
	v_lshrrev_b32_e32 v6, 8, v7
	v_bfe_u32 v11, v7, 20, 11
	v_and_or_b32 v1, v6, s7, v1
	v_sub_u32_e32 v12, 0x3f1, v11
	v_or_b32_e32 v6, 0x1000, v1
	v_med3_i32 v12, v12, 0, 13
	v_lshrrev_b32_e32 v13, v12, v6
	v_lshlrev_b32_e32 v12, v12, v13
	v_mul_f16_sdwa v8, v146, v8 dst_sel:DWORD dst_unused:UNUSED_PAD src0_sel:WORD_1 src1_sel:DWORD
	v_cmp_ne_u32_e32 vcc, v12, v6
	v_fma_f16 v8, v146, v10, -v8
	v_cndmask_b32_e64 v6, 0, 1, vcc
	v_add_u32_e32 v12, 0xfffffc10, v11
	v_cvt_f32_f16_e32 v8, v8
	v_or_b32_e32 v6, v13, v6
	v_lshl_or_b32 v11, v12, 12, v1
	v_cmp_gt_i32_e32 vcc, 1, v12
	v_cndmask_b32_e32 v6, v11, v6, vcc
	v_and_b32_e32 v11, 7, v6
	v_cmp_lt_i32_e32 vcc, 5, v11
	v_cmp_eq_u32_e64 s[0:1], 3, v11
	v_cvt_f64_f32_e32 v[10:11], v8
	v_lshrrev_b32_e32 v6, 2, v6
	s_or_b64 vcc, s[0:1], vcc
	v_addc_co_u32_e32 v6, vcc, 0, v6, vcc
	v_mul_f64 v[10:11], v[10:11], s[4:5]
	v_cmp_gt_i32_e32 vcc, 31, v12
	v_cndmask_b32_e32 v6, v2, v6, vcc
	v_cmp_ne_u32_e32 vcc, 0, v1
	v_cndmask_b32_e64 v1, 0, 1, vcc
	v_lshl_or_b32 v1, v1, 9, v2
	v_cmp_eq_u32_e32 vcc, s10, v12
	v_cndmask_b32_e32 v1, v6, v1, vcc
	v_lshrrev_b32_e32 v6, 16, v7
	v_and_or_b32 v1, v6, s11, v1
	v_and_or_b32 v6, v11, s6, v10
	v_cmp_ne_u32_e32 vcc, 0, v6
	v_cndmask_b32_e64 v6, 0, 1, vcc
	v_lshrrev_b32_e32 v7, 8, v11
	v_bfe_u32 v8, v11, 20, 11
	v_and_or_b32 v6, v7, s7, v6
	v_sub_u32_e32 v10, 0x3f1, v8
	v_or_b32_e32 v7, 0x1000, v6
	v_med3_i32 v10, v10, 0, 13
	v_lshrrev_b32_e32 v12, v10, v7
	v_lshlrev_b32_e32 v10, v10, v12
	v_cmp_ne_u32_e32 vcc, v10, v7
	v_cndmask_b32_e64 v7, 0, 1, vcc
	v_add_u32_e32 v8, 0xfffffc10, v8
	v_or_b32_e32 v7, v12, v7
	v_lshl_or_b32 v10, v8, 12, v6
	v_cmp_gt_i32_e32 vcc, 1, v8
	v_cndmask_b32_e32 v7, v10, v7, vcc
	v_and_b32_e32 v10, 7, v7
	v_cmp_lt_i32_e32 vcc, 5, v10
	v_cmp_eq_u32_e64 s[0:1], 3, v10
	v_lshrrev_b32_e32 v10, 16, v3
	v_lshrrev_b32_e32 v7, 2, v7
	s_or_b64 vcc, s[0:1], vcc
	v_mul_f16_sdwa v12, v151, v10 dst_sel:DWORD dst_unused:UNUSED_PAD src0_sel:WORD_1 src1_sel:DWORD
	v_addc_co_u32_e32 v7, vcc, 0, v7, vcc
	v_fma_f16 v12, v151, v3, v12
	v_cmp_gt_i32_e32 vcc, 31, v8
	v_cvt_f32_f16_e32 v12, v12
	v_cndmask_b32_e32 v7, v2, v7, vcc
	v_cmp_ne_u32_e32 vcc, 0, v6
	v_cndmask_b32_e64 v6, 0, 1, vcc
	v_lshl_or_b32 v6, v6, 9, v2
	v_cmp_eq_u32_e32 vcc, s10, v8
	v_cndmask_b32_e32 v8, v7, v6, vcc
	v_cvt_f64_f32_e32 v[6:7], v12
	v_lshrrev_b32_e32 v11, 16, v11
	v_and_or_b32 v8, v11, s11, v8
	v_and_b32_e32 v1, 0xffff, v1
	v_mul_f64 v[6:7], v[6:7], s[4:5]
	v_lshl_or_b32 v1, v8, 16, v1
	v_mov_b32_e32 v8, s2
	v_add_co_u32_e32 v4, vcc, s3, v4
	v_addc_co_u32_e32 v5, vcc, v5, v8, vcc
	global_store_dword v[4:5], v1, off
	v_and_or_b32 v1, v7, s6, v6
	v_cmp_ne_u32_e32 vcc, 0, v1
	v_cndmask_b32_e64 v1, 0, 1, vcc
	v_lshrrev_b32_e32 v6, 8, v7
	v_bfe_u32 v8, v7, 20, 11
	v_and_or_b32 v1, v6, s7, v1
	v_sub_u32_e32 v11, 0x3f1, v8
	v_or_b32_e32 v6, 0x1000, v1
	v_med3_i32 v11, v11, 0, 13
	v_lshrrev_b32_e32 v12, v11, v6
	v_lshlrev_b32_e32 v11, v11, v12
	v_mul_f16_sdwa v3, v151, v3 dst_sel:DWORD dst_unused:UNUSED_PAD src0_sel:WORD_1 src1_sel:DWORD
	v_cmp_ne_u32_e32 vcc, v11, v6
	v_fma_f16 v3, v151, v10, -v3
	v_cndmask_b32_e64 v6, 0, 1, vcc
	v_add_u32_e32 v8, 0xfffffc10, v8
	v_cvt_f32_f16_e32 v3, v3
	v_or_b32_e32 v6, v12, v6
	v_lshl_or_b32 v11, v8, 12, v1
	v_cmp_gt_i32_e32 vcc, 1, v8
	v_cndmask_b32_e32 v6, v11, v6, vcc
	v_and_b32_e32 v11, 7, v6
	v_cmp_lt_i32_e32 vcc, 5, v11
	v_cmp_eq_u32_e64 s[0:1], 3, v11
	v_cvt_f64_f32_e32 v[10:11], v3
	v_lshrrev_b32_e32 v6, 2, v6
	s_or_b64 vcc, s[0:1], vcc
	v_addc_co_u32_e32 v3, vcc, 0, v6, vcc
	v_mul_f64 v[10:11], v[10:11], s[4:5]
	v_cmp_gt_i32_e32 vcc, 31, v8
	v_cndmask_b32_e32 v3, v2, v3, vcc
	v_cmp_ne_u32_e32 vcc, 0, v1
	v_cndmask_b32_e64 v1, 0, 1, vcc
	v_lshl_or_b32 v1, v1, 9, v2
	v_cmp_eq_u32_e32 vcc, s10, v8
	v_cndmask_b32_e32 v1, v3, v1, vcc
	v_lshrrev_b32_e32 v3, 16, v7
	v_and_or_b32 v1, v3, s11, v1
	v_and_or_b32 v3, v11, s6, v10
	v_cmp_ne_u32_e32 vcc, 0, v3
	v_cndmask_b32_e64 v3, 0, 1, vcc
	v_lshrrev_b32_e32 v6, 8, v11
	v_bfe_u32 v7, v11, 20, 11
	v_and_or_b32 v3, v6, s7, v3
	v_sub_u32_e32 v8, 0x3f1, v7
	v_or_b32_e32 v6, 0x1000, v3
	v_med3_i32 v8, v8, 0, 13
	v_lshrrev_b32_e32 v10, v8, v6
	v_lshlrev_b32_e32 v8, v8, v10
	v_cmp_ne_u32_e32 vcc, v8, v6
	v_cndmask_b32_e64 v6, 0, 1, vcc
	v_add_u32_e32 v8, 0xfffffc10, v7
	v_or_b32_e32 v6, v10, v6
	v_lshl_or_b32 v7, v8, 12, v3
	v_cmp_gt_i32_e32 vcc, 1, v8
	v_cndmask_b32_e32 v6, v7, v6, vcc
	v_and_b32_e32 v7, 7, v6
	v_cmp_lt_i32_e32 vcc, 5, v7
	v_cmp_eq_u32_e64 s[0:1], 3, v7
	v_lshrrev_b32_e32 v6, 2, v6
	s_or_b64 vcc, s[0:1], vcc
	v_addc_co_u32_e32 v6, vcc, 0, v6, vcc
	v_cmp_gt_i32_e32 vcc, 31, v8
	v_cndmask_b32_e32 v10, v2, v6, vcc
	v_add_u32_e32 v6, 0x800, v123
	ds_read2_b32 v[6:7], v6 offset0:118 offset1:181
	v_cmp_ne_u32_e32 vcc, 0, v3
	v_cndmask_b32_e64 v3, 0, 1, vcc
	v_lshl_or_b32 v3, v3, 9, v2
	v_cmp_eq_u32_e32 vcc, s10, v8
	v_cndmask_b32_e32 v3, v10, v3, vcc
	v_lshrrev_b32_e32 v8, 16, v11
	v_and_or_b32 v3, v8, s11, v3
	s_waitcnt lgkmcnt(0)
	v_lshrrev_b32_e32 v8, 16, v6
	v_mul_f16_sdwa v10, v144, v8 dst_sel:DWORD dst_unused:UNUSED_PAD src0_sel:WORD_1 src1_sel:DWORD
	v_fma_f16 v10, v144, v6, v10
	v_cvt_f32_f16_e32 v10, v10
	s_mul_hi_u32 s1, s8, 0xffffef44
	s_mul_i32 s0, s9, 0xffffef44
	s_sub_i32 s9, s1, s8
	v_cvt_f64_f32_e32 v[10:11], v10
	v_and_b32_e32 v1, 0xffff, v1
	s_add_i32 s9, s9, s0
	s_mulk_i32 s8, 0xef44
	v_mul_f64 v[10:11], v[10:11], s[4:5]
	v_lshl_or_b32 v1, v3, 16, v1
	v_mov_b32_e32 v12, s9
	v_add_co_u32_e32 v3, vcc, s8, v4
	v_addc_co_u32_e32 v4, vcc, v5, v12, vcc
	global_store_dword v[3:4], v1, off
	v_and_or_b32 v1, v11, s6, v10
	v_cmp_ne_u32_e32 vcc, 0, v1
	v_cndmask_b32_e64 v1, 0, 1, vcc
	v_lshrrev_b32_e32 v5, 8, v11
	v_bfe_u32 v10, v11, 20, 11
	v_and_or_b32 v1, v5, s7, v1
	v_sub_u32_e32 v12, 0x3f1, v10
	v_or_b32_e32 v5, 0x1000, v1
	v_med3_i32 v12, v12, 0, 13
	v_lshrrev_b32_e32 v13, v12, v5
	v_mul_f16_sdwa v6, v144, v6 dst_sel:DWORD dst_unused:UNUSED_PAD src0_sel:WORD_1 src1_sel:DWORD
	v_lshlrev_b32_e32 v12, v12, v13
	v_fma_f16 v6, v144, v8, -v6
	v_cmp_ne_u32_e32 vcc, v12, v5
	v_cvt_f32_f16_e32 v6, v6
	v_cndmask_b32_e64 v5, 0, 1, vcc
	v_add_u32_e32 v10, 0xfffffc10, v10
	v_or_b32_e32 v5, v13, v5
	v_lshl_or_b32 v12, v10, 12, v1
	v_cmp_gt_i32_e32 vcc, 1, v10
	v_cndmask_b32_e32 v5, v12, v5, vcc
	v_and_b32_e32 v12, 7, v5
	v_lshrrev_b32_e32 v8, 2, v5
	v_cvt_f64_f32_e32 v[5:6], v6
	v_cmp_lt_i32_e32 vcc, 5, v12
	v_cmp_eq_u32_e64 s[0:1], 3, v12
	s_or_b64 vcc, s[0:1], vcc
	v_mul_f64 v[5:6], v[5:6], s[4:5]
	v_addc_co_u32_e32 v8, vcc, 0, v8, vcc
	v_cmp_gt_i32_e32 vcc, 31, v10
	v_cndmask_b32_e32 v8, v2, v8, vcc
	v_cmp_ne_u32_e32 vcc, 0, v1
	v_cndmask_b32_e64 v1, 0, 1, vcc
	v_lshl_or_b32 v1, v1, 9, v2
	v_cmp_eq_u32_e32 vcc, s10, v10
	v_and_or_b32 v5, v6, s6, v5
	v_cndmask_b32_e32 v1, v8, v1, vcc
	v_lshrrev_b32_e32 v8, 16, v11
	v_cmp_ne_u32_e32 vcc, 0, v5
	v_and_or_b32 v1, v8, s11, v1
	v_cndmask_b32_e64 v5, 0, 1, vcc
	v_lshrrev_b32_e32 v8, 8, v6
	v_bfe_u32 v10, v6, 20, 11
	v_and_or_b32 v5, v8, s7, v5
	v_sub_u32_e32 v11, 0x3f1, v10
	v_or_b32_e32 v8, 0x1000, v5
	v_med3_i32 v11, v11, 0, 13
	v_lshrrev_b32_e32 v12, v11, v8
	v_lshlrev_b32_e32 v11, v11, v12
	v_cmp_ne_u32_e32 vcc, v11, v8
	v_cndmask_b32_e64 v8, 0, 1, vcc
	v_add_u32_e32 v10, 0xfffffc10, v10
	v_or_b32_e32 v8, v12, v8
	v_lshl_or_b32 v11, v10, 12, v5
	v_cmp_gt_i32_e32 vcc, 1, v10
	v_cndmask_b32_e32 v8, v11, v8, vcc
	v_and_b32_e32 v11, 7, v8
	v_lshrrev_b32_e32 v12, 16, v9
	v_cmp_lt_i32_e32 vcc, 5, v11
	v_cmp_eq_u32_e64 s[0:1], 3, v11
	v_mul_f16_sdwa v11, v147, v12 dst_sel:DWORD dst_unused:UNUSED_PAD src0_sel:WORD_1 src1_sel:DWORD
	v_fma_f16 v11, v147, v9, v11
	v_lshrrev_b32_e32 v8, 2, v8
	s_or_b64 vcc, s[0:1], vcc
	v_cvt_f32_f16_e32 v11, v11
	v_addc_co_u32_e32 v8, vcc, 0, v8, vcc
	v_cmp_gt_i32_e32 vcc, 31, v10
	v_cndmask_b32_e32 v8, v2, v8, vcc
	v_cmp_ne_u32_e32 vcc, 0, v5
	v_cndmask_b32_e64 v5, 0, 1, vcc
	v_cmp_eq_u32_e32 vcc, s10, v10
	v_cvt_f64_f32_e32 v[10:11], v11
	v_lshl_or_b32 v5, v5, 9, v2
	v_cndmask_b32_e32 v5, v8, v5, vcc
	v_lshrrev_b32_e32 v6, 16, v6
	v_and_or_b32 v8, v6, s11, v5
	v_mul_f64 v[5:6], v[10:11], s[4:5]
	v_and_b32_e32 v1, 0xffff, v1
	v_lshl_or_b32 v1, v8, 16, v1
	v_mov_b32_e32 v8, s2
	v_add_co_u32_e32 v3, vcc, s3, v3
	v_addc_co_u32_e32 v4, vcc, v4, v8, vcc
	global_store_dword v[3:4], v1, off
	v_and_or_b32 v1, v6, s6, v5
	v_cmp_ne_u32_e32 vcc, 0, v1
	v_cndmask_b32_e64 v1, 0, 1, vcc
	v_lshrrev_b32_e32 v5, 8, v6
	v_bfe_u32 v8, v6, 20, 11
	v_and_or_b32 v1, v5, s7, v1
	v_sub_u32_e32 v10, 0x3f1, v8
	v_or_b32_e32 v5, 0x1000, v1
	v_med3_i32 v10, v10, 0, 13
	v_lshrrev_b32_e32 v11, v10, v5
	v_lshlrev_b32_e32 v10, v10, v11
	v_mul_f16_sdwa v9, v147, v9 dst_sel:DWORD dst_unused:UNUSED_PAD src0_sel:WORD_1 src1_sel:DWORD
	v_cmp_ne_u32_e32 vcc, v10, v5
	v_fma_f16 v9, v147, v12, -v9
	v_cndmask_b32_e64 v5, 0, 1, vcc
	v_add_u32_e32 v10, 0xfffffc10, v8
	v_cvt_f32_f16_e32 v9, v9
	v_or_b32_e32 v5, v11, v5
	v_lshl_or_b32 v8, v10, 12, v1
	v_cmp_gt_i32_e32 vcc, 1, v10
	v_cndmask_b32_e32 v5, v8, v5, vcc
	v_and_b32_e32 v8, 7, v5
	v_cmp_lt_i32_e32 vcc, 5, v8
	v_cmp_eq_u32_e64 s[0:1], 3, v8
	v_cvt_f64_f32_e32 v[8:9], v9
	v_lshrrev_b32_e32 v5, 2, v5
	s_or_b64 vcc, s[0:1], vcc
	v_addc_co_u32_e32 v5, vcc, 0, v5, vcc
	v_mul_f64 v[8:9], v[8:9], s[4:5]
	v_cmp_gt_i32_e32 vcc, 31, v10
	v_cndmask_b32_e32 v5, v2, v5, vcc
	v_cmp_ne_u32_e32 vcc, 0, v1
	v_cndmask_b32_e64 v1, 0, 1, vcc
	v_lshl_or_b32 v1, v1, 9, v2
	v_cmp_eq_u32_e32 vcc, s10, v10
	v_cndmask_b32_e32 v1, v5, v1, vcc
	v_lshrrev_b32_e32 v5, 16, v6
	v_and_or_b32 v1, v5, s11, v1
	v_and_or_b32 v5, v9, s6, v8
	v_cmp_ne_u32_e32 vcc, 0, v5
	v_cndmask_b32_e64 v5, 0, 1, vcc
	v_lshrrev_b32_e32 v6, 8, v9
	v_and_or_b32 v8, v6, s7, v5
	v_bfe_u32 v6, v9, 20, 11
	v_sub_u32_e32 v10, 0x3f1, v6
	v_or_b32_e32 v5, 0x1000, v8
	v_med3_i32 v10, v10, 0, 13
	v_lshrrev_b32_e32 v11, v10, v5
	v_lshlrev_b32_e32 v10, v10, v11
	v_cmp_ne_u32_e32 vcc, v10, v5
	v_cndmask_b32_e64 v5, 0, 1, vcc
	v_add_u32_e32 v10, 0xfffffc10, v6
	v_or_b32_e32 v5, v11, v5
	v_lshl_or_b32 v6, v10, 12, v8
	v_cmp_gt_i32_e32 vcc, 1, v10
	v_cndmask_b32_e32 v5, v6, v5, vcc
	v_and_b32_e32 v6, 7, v5
	v_cmp_lt_i32_e32 vcc, 5, v6
	v_cmp_eq_u32_e64 s[0:1], 3, v6
	v_lshrrev_b32_e32 v5, 2, v5
	s_or_b64 vcc, s[0:1], vcc
	v_addc_co_u32_e32 v11, vcc, 0, v5, vcc
	ds_read2_b32 v[5:6], v123 offset0:126 offset1:189
	v_cmp_gt_i32_e32 vcc, 31, v10
	v_cndmask_b32_e32 v11, v2, v11, vcc
	v_cmp_ne_u32_e32 vcc, 0, v8
	v_cndmask_b32_e64 v8, 0, 1, vcc
	s_waitcnt lgkmcnt(0)
	v_lshrrev_b32_e32 v12, 16, v5
	v_mul_f16_sdwa v13, v145, v12 dst_sel:DWORD dst_unused:UNUSED_PAD src0_sel:WORD_1 src1_sel:DWORD
	v_fma_f16 v13, v145, v5, v13
	v_cvt_f32_f16_e32 v13, v13
	v_lshl_or_b32 v8, v8, 9, v2
	v_cmp_eq_u32_e32 vcc, s10, v10
	v_cndmask_b32_e32 v8, v11, v8, vcc
	v_cvt_f64_f32_e32 v[10:11], v13
	v_lshrrev_b32_e32 v9, 16, v9
	v_and_or_b32 v13, v9, s11, v8
	v_and_b32_e32 v1, 0xffff, v1
	v_mul_f64 v[8:9], v[10:11], s[4:5]
	v_mov_b32_e32 v10, s2
	v_add_co_u32_e32 v3, vcc, s3, v3
	v_lshl_or_b32 v1, v13, 16, v1
	v_addc_co_u32_e32 v4, vcc, v4, v10, vcc
	global_store_dword v[3:4], v1, off
	v_and_or_b32 v1, v9, s6, v8
	v_cmp_ne_u32_e32 vcc, 0, v1
	v_cndmask_b32_e64 v1, 0, 1, vcc
	v_lshrrev_b32_e32 v8, 8, v9
	v_bfe_u32 v10, v9, 20, 11
	v_and_or_b32 v1, v8, s7, v1
	v_sub_u32_e32 v11, 0x3f1, v10
	v_or_b32_e32 v8, 0x1000, v1
	v_med3_i32 v11, v11, 0, 13
	v_lshrrev_b32_e32 v13, v11, v8
	v_lshlrev_b32_e32 v11, v11, v13
	v_cmp_ne_u32_e32 vcc, v11, v8
	v_mul_f16_sdwa v5, v145, v5 dst_sel:DWORD dst_unused:UNUSED_PAD src0_sel:WORD_1 src1_sel:DWORD
	v_cndmask_b32_e64 v8, 0, 1, vcc
	v_fma_f16 v5, v145, v12, -v5
	v_or_b32_e32 v8, v13, v8
	v_add_u32_e32 v13, 0xfffffc10, v10
	v_cvt_f32_f16_e32 v5, v5
	v_lshl_or_b32 v10, v13, 12, v1
	v_cmp_gt_i32_e32 vcc, 1, v13
	v_cndmask_b32_e32 v8, v10, v8, vcc
	v_and_b32_e32 v10, 7, v8
	v_cmp_lt_i32_e32 vcc, 5, v10
	v_cmp_eq_u32_e64 s[0:1], 3, v10
	v_cvt_f64_f32_e32 v[10:11], v5
	v_lshrrev_b32_e32 v8, 2, v8
	s_or_b64 vcc, s[0:1], vcc
	v_addc_co_u32_e32 v5, vcc, 0, v8, vcc
	v_mul_f64 v[10:11], v[10:11], s[4:5]
	v_cmp_gt_i32_e32 vcc, 31, v13
	v_cndmask_b32_e32 v5, v2, v5, vcc
	v_cmp_ne_u32_e32 vcc, 0, v1
	v_cndmask_b32_e64 v1, 0, 1, vcc
	v_lshl_or_b32 v1, v1, 9, v2
	v_cmp_eq_u32_e32 vcc, s10, v13
	v_cndmask_b32_e32 v1, v5, v1, vcc
	v_lshrrev_b32_e32 v5, 16, v9
	v_and_or_b32 v1, v5, s11, v1
	v_and_or_b32 v5, v11, s6, v10
	v_cmp_ne_u32_e32 vcc, 0, v5
	v_cndmask_b32_e64 v5, 0, 1, vcc
	v_lshrrev_b32_e32 v8, 8, v11
	v_bfe_u32 v9, v11, 20, 11
	v_and_or_b32 v5, v8, s7, v5
	v_sub_u32_e32 v10, 0x3f1, v9
	v_or_b32_e32 v8, 0x1000, v5
	v_med3_i32 v10, v10, 0, 13
	v_lshrrev_b32_e32 v12, v10, v8
	v_lshlrev_b32_e32 v10, v10, v12
	v_cmp_ne_u32_e32 vcc, v10, v8
	v_cndmask_b32_e64 v8, 0, 1, vcc
	v_add_u32_e32 v9, 0xfffffc10, v9
	v_or_b32_e32 v8, v12, v8
	v_lshl_or_b32 v10, v9, 12, v5
	v_cmp_gt_i32_e32 vcc, 1, v9
	v_cndmask_b32_e32 v8, v10, v8, vcc
	v_and_b32_e32 v10, 7, v8
	v_cmp_lt_i32_e32 vcc, 5, v10
	v_cmp_eq_u32_e64 s[0:1], 3, v10
	v_lshrrev_b32_e32 v10, 16, v7
	v_lshrrev_b32_e32 v8, 2, v8
	s_or_b64 vcc, s[0:1], vcc
	v_mul_f16_sdwa v12, v141, v10 dst_sel:DWORD dst_unused:UNUSED_PAD src0_sel:WORD_1 src1_sel:DWORD
	v_addc_co_u32_e32 v8, vcc, 0, v8, vcc
	v_fma_f16 v12, v141, v7, v12
	v_cmp_gt_i32_e32 vcc, 31, v9
	v_cvt_f32_f16_e32 v12, v12
	v_cndmask_b32_e32 v8, v2, v8, vcc
	v_cmp_ne_u32_e32 vcc, 0, v5
	v_cndmask_b32_e64 v5, 0, 1, vcc
	v_lshl_or_b32 v5, v5, 9, v2
	v_cmp_eq_u32_e32 vcc, s10, v9
	v_cndmask_b32_e32 v5, v8, v5, vcc
	v_cvt_f64_f32_e32 v[8:9], v12
	v_lshrrev_b32_e32 v11, 16, v11
	v_and_or_b32 v5, v11, s11, v5
	v_and_b32_e32 v1, 0xffff, v1
	v_mul_f64 v[8:9], v[8:9], s[4:5]
	v_lshl_or_b32 v1, v5, 16, v1
	v_mov_b32_e32 v5, s9
	v_add_co_u32_e32 v3, vcc, s8, v3
	v_addc_co_u32_e32 v4, vcc, v4, v5, vcc
	global_store_dword v[3:4], v1, off
	v_and_or_b32 v1, v9, s6, v8
	v_cmp_ne_u32_e32 vcc, 0, v1
	v_cndmask_b32_e64 v1, 0, 1, vcc
	v_lshrrev_b32_e32 v5, 8, v9
	v_bfe_u32 v8, v9, 20, 11
	v_and_or_b32 v1, v5, s7, v1
	v_sub_u32_e32 v11, 0x3f1, v8
	v_or_b32_e32 v5, 0x1000, v1
	v_med3_i32 v11, v11, 0, 13
	v_lshrrev_b32_e32 v12, v11, v5
	v_lshlrev_b32_e32 v11, v11, v12
	v_mul_f16_sdwa v7, v141, v7 dst_sel:DWORD dst_unused:UNUSED_PAD src0_sel:WORD_1 src1_sel:DWORD
	v_cmp_ne_u32_e32 vcc, v11, v5
	v_fma_f16 v7, v141, v10, -v7
	v_cndmask_b32_e64 v5, 0, 1, vcc
	v_add_u32_e32 v11, 0xfffffc10, v8
	v_cvt_f32_f16_e32 v7, v7
	v_or_b32_e32 v5, v12, v5
	v_lshl_or_b32 v8, v11, 12, v1
	v_cmp_gt_i32_e32 vcc, 1, v11
	v_cndmask_b32_e32 v5, v8, v5, vcc
	v_and_b32_e32 v8, 7, v5
	v_cmp_lt_i32_e32 vcc, 5, v8
	v_cmp_eq_u32_e64 s[0:1], 3, v8
	v_cvt_f64_f32_e32 v[7:8], v7
	v_lshrrev_b32_e32 v5, 2, v5
	s_or_b64 vcc, s[0:1], vcc
	v_addc_co_u32_e32 v5, vcc, 0, v5, vcc
	v_mul_f64 v[7:8], v[7:8], s[4:5]
	v_cmp_gt_i32_e32 vcc, 31, v11
	v_cndmask_b32_e32 v5, v2, v5, vcc
	v_cmp_ne_u32_e32 vcc, 0, v1
	v_cndmask_b32_e64 v1, 0, 1, vcc
	v_lshl_or_b32 v1, v1, 9, v2
	v_cmp_eq_u32_e32 vcc, s10, v11
	v_cndmask_b32_e32 v1, v5, v1, vcc
	v_lshrrev_b32_e32 v5, 16, v9
	v_and_or_b32 v1, v5, s11, v1
	v_and_or_b32 v5, v8, s6, v7
	v_cmp_ne_u32_e32 vcc, 0, v5
	v_cndmask_b32_e64 v5, 0, 1, vcc
	v_lshrrev_b32_e32 v7, 8, v8
	v_bfe_u32 v9, v8, 20, 11
	v_and_or_b32 v5, v7, s7, v5
	v_sub_u32_e32 v10, 0x3f1, v9
	v_or_b32_e32 v7, 0x1000, v5
	v_med3_i32 v10, v10, 0, 13
	v_lshrrev_b32_e32 v11, v10, v7
	v_lshlrev_b32_e32 v10, v10, v11
	v_cmp_ne_u32_e32 vcc, v10, v7
	v_cndmask_b32_e64 v7, 0, 1, vcc
	v_or_b32_e32 v7, v11, v7
	v_add_u32_e32 v11, 0xfffffc10, v9
	v_lshl_or_b32 v9, v11, 12, v5
	v_cmp_gt_i32_e32 vcc, 1, v11
	v_cndmask_b32_e32 v7, v9, v7, vcc
	v_and_b32_e32 v9, 7, v7
	v_cmp_lt_i32_e32 vcc, 5, v9
	v_cmp_eq_u32_e64 s[0:1], 3, v9
	v_add_u32_e32 v9, 0x1200, v123
	ds_read2_b32 v[9:10], v9 offset0:108 offset1:171
	v_lshrrev_b32_e32 v7, 2, v7
	s_or_b64 vcc, s[0:1], vcc
	v_addc_co_u32_e32 v7, vcc, 0, v7, vcc
	s_waitcnt lgkmcnt(0)
	v_lshrrev_b32_e32 v13, 16, v9
	v_mul_f16_sdwa v12, v143, v13 dst_sel:DWORD dst_unused:UNUSED_PAD src0_sel:WORD_1 src1_sel:DWORD
	v_fma_f16 v12, v143, v9, v12
	v_cvt_f32_f16_e32 v12, v12
	v_cmp_gt_i32_e32 vcc, 31, v11
	v_cndmask_b32_e32 v7, v2, v7, vcc
	v_cmp_ne_u32_e32 vcc, 0, v5
	v_cndmask_b32_e64 v5, 0, 1, vcc
	v_cmp_eq_u32_e32 vcc, s10, v11
	v_cvt_f64_f32_e32 v[11:12], v12
	v_lshl_or_b32 v5, v5, 9, v2
	v_cndmask_b32_e32 v5, v7, v5, vcc
	v_lshrrev_b32_e32 v7, 16, v8
	v_and_or_b32 v5, v7, s11, v5
	v_mul_f64 v[7:8], v[11:12], s[4:5]
	v_and_b32_e32 v1, 0xffff, v1
	v_lshl_or_b32 v1, v5, 16, v1
	v_mov_b32_e32 v5, s2
	v_add_co_u32_e32 v3, vcc, s3, v3
	v_addc_co_u32_e32 v4, vcc, v4, v5, vcc
	global_store_dword v[3:4], v1, off
	v_and_or_b32 v1, v8, s6, v7
	v_cmp_ne_u32_e32 vcc, 0, v1
	v_cndmask_b32_e64 v1, 0, 1, vcc
	v_lshrrev_b32_e32 v5, 8, v8
	v_bfe_u32 v7, v8, 20, 11
	v_and_or_b32 v1, v5, s7, v1
	v_sub_u32_e32 v11, 0x3f1, v7
	v_or_b32_e32 v5, 0x1000, v1
	v_med3_i32 v11, v11, 0, 13
	v_lshrrev_b32_e32 v12, v11, v5
	v_lshlrev_b32_e32 v11, v11, v12
	v_mul_f16_sdwa v9, v143, v9 dst_sel:DWORD dst_unused:UNUSED_PAD src0_sel:WORD_1 src1_sel:DWORD
	v_cmp_ne_u32_e32 vcc, v11, v5
	v_fma_f16 v9, v143, v13, -v9
	v_cndmask_b32_e64 v5, 0, 1, vcc
	v_add_u32_e32 v7, 0xfffffc10, v7
	v_cvt_f32_f16_e32 v9, v9
	v_or_b32_e32 v5, v12, v5
	v_lshl_or_b32 v11, v7, 12, v1
	v_cmp_gt_i32_e32 vcc, 1, v7
	v_cndmask_b32_e32 v5, v11, v5, vcc
	v_and_b32_e32 v11, 7, v5
	v_cmp_lt_i32_e32 vcc, 5, v11
	v_cmp_eq_u32_e64 s[0:1], 3, v11
	v_cvt_f64_f32_e32 v[11:12], v9
	v_lshrrev_b32_e32 v5, 2, v5
	s_or_b64 vcc, s[0:1], vcc
	v_addc_co_u32_e32 v5, vcc, 0, v5, vcc
	v_mul_f64 v[11:12], v[11:12], s[4:5]
	v_cmp_gt_i32_e32 vcc, 31, v7
	v_cndmask_b32_e32 v5, v2, v5, vcc
	v_cmp_ne_u32_e32 vcc, 0, v1
	v_cndmask_b32_e64 v1, 0, 1, vcc
	v_lshl_or_b32 v1, v1, 9, v2
	v_cmp_eq_u32_e32 vcc, s10, v7
	v_cndmask_b32_e32 v1, v5, v1, vcc
	v_lshrrev_b32_e32 v5, 16, v8
	v_and_or_b32 v1, v5, s11, v1
	v_and_or_b32 v5, v12, s6, v11
	v_cmp_ne_u32_e32 vcc, 0, v5
	v_cndmask_b32_e64 v5, 0, 1, vcc
	v_lshrrev_b32_e32 v7, 8, v12
	v_bfe_u32 v8, v12, 20, 11
	v_and_or_b32 v5, v7, s7, v5
	v_sub_u32_e32 v9, 0x3f1, v8
	v_or_b32_e32 v7, 0x1000, v5
	v_med3_i32 v9, v9, 0, 13
	v_lshrrev_b32_e32 v11, v9, v7
	v_lshlrev_b32_e32 v9, v9, v11
	v_cmp_ne_u32_e32 vcc, v9, v7
	v_cndmask_b32_e64 v7, 0, 1, vcc
	v_add_u32_e32 v8, 0xfffffc10, v8
	v_or_b32_e32 v7, v11, v7
	v_lshl_or_b32 v9, v8, 12, v5
	v_cmp_gt_i32_e32 vcc, 1, v8
	v_cndmask_b32_e32 v7, v9, v7, vcc
	v_and_b32_e32 v9, 7, v7
	v_cmp_lt_i32_e32 vcc, 5, v9
	v_cmp_eq_u32_e64 s[0:1], 3, v9
	v_lshrrev_b32_e32 v9, 16, v6
	v_lshrrev_b32_e32 v7, 2, v7
	s_or_b64 vcc, s[0:1], vcc
	v_mul_f16_sdwa v11, v142, v9 dst_sel:DWORD dst_unused:UNUSED_PAD src0_sel:WORD_1 src1_sel:DWORD
	v_addc_co_u32_e32 v7, vcc, 0, v7, vcc
	v_fma_f16 v11, v142, v6, v11
	v_cmp_gt_i32_e32 vcc, 31, v8
	v_cvt_f32_f16_e32 v11, v11
	v_cndmask_b32_e32 v7, v2, v7, vcc
	v_cmp_ne_u32_e32 vcc, 0, v5
	v_cndmask_b32_e64 v5, 0, 1, vcc
	v_lshl_or_b32 v5, v5, 9, v2
	v_cmp_eq_u32_e32 vcc, s10, v8
	v_cndmask_b32_e32 v5, v7, v5, vcc
	v_cvt_f64_f32_e32 v[7:8], v11
	v_lshrrev_b32_e32 v11, 16, v12
	v_and_or_b32 v5, v11, s11, v5
	v_and_b32_e32 v1, 0xffff, v1
	v_mul_f64 v[7:8], v[7:8], s[4:5]
	v_lshl_or_b32 v1, v5, 16, v1
	v_mov_b32_e32 v5, s2
	v_add_co_u32_e32 v3, vcc, s3, v3
	v_addc_co_u32_e32 v4, vcc, v4, v5, vcc
	global_store_dword v[3:4], v1, off
	v_and_or_b32 v1, v8, s6, v7
	v_cmp_ne_u32_e32 vcc, 0, v1
	v_cndmask_b32_e64 v1, 0, 1, vcc
	v_lshrrev_b32_e32 v5, 8, v8
	v_bfe_u32 v7, v8, 20, 11
	v_and_or_b32 v1, v5, s7, v1
	v_sub_u32_e32 v11, 0x3f1, v7
	v_or_b32_e32 v5, 0x1000, v1
	v_med3_i32 v11, v11, 0, 13
	v_lshrrev_b32_e32 v12, v11, v5
	v_mul_f16_sdwa v6, v142, v6 dst_sel:DWORD dst_unused:UNUSED_PAD src0_sel:WORD_1 src1_sel:DWORD
	v_lshlrev_b32_e32 v11, v11, v12
	v_fma_f16 v6, v142, v9, -v6
	v_cmp_ne_u32_e32 vcc, v11, v5
	v_cvt_f32_f16_e32 v6, v6
	v_cndmask_b32_e64 v5, 0, 1, vcc
	v_add_u32_e32 v7, 0xfffffc10, v7
	v_or_b32_e32 v5, v12, v5
	v_lshl_or_b32 v11, v7, 12, v1
	v_cmp_gt_i32_e32 vcc, 1, v7
	v_cndmask_b32_e32 v5, v11, v5, vcc
	v_and_b32_e32 v11, 7, v5
	v_lshrrev_b32_e32 v9, 2, v5
	v_cvt_f64_f32_e32 v[5:6], v6
	v_cmp_lt_i32_e32 vcc, 5, v11
	v_cmp_eq_u32_e64 s[0:1], 3, v11
	s_or_b64 vcc, s[0:1], vcc
	v_mul_f64 v[5:6], v[5:6], s[4:5]
	v_addc_co_u32_e32 v9, vcc, 0, v9, vcc
	v_cmp_gt_i32_e32 vcc, 31, v7
	v_cndmask_b32_e32 v9, v2, v9, vcc
	v_cmp_ne_u32_e32 vcc, 0, v1
	v_cndmask_b32_e64 v1, 0, 1, vcc
	v_lshl_or_b32 v1, v1, 9, v2
	v_cmp_eq_u32_e32 vcc, s10, v7
	v_and_or_b32 v5, v6, s6, v5
	v_cndmask_b32_e32 v1, v9, v1, vcc
	v_lshrrev_b32_e32 v7, 16, v8
	v_cmp_ne_u32_e32 vcc, 0, v5
	v_and_or_b32 v1, v7, s11, v1
	v_cndmask_b32_e64 v5, 0, 1, vcc
	v_lshrrev_b32_e32 v7, 8, v6
	v_bfe_u32 v8, v6, 20, 11
	v_and_or_b32 v5, v7, s7, v5
	v_sub_u32_e32 v9, 0x3f1, v8
	v_or_b32_e32 v7, 0x1000, v5
	v_med3_i32 v9, v9, 0, 13
	v_lshrrev_b32_e32 v11, v9, v7
	v_lshlrev_b32_e32 v9, v9, v11
	v_cmp_ne_u32_e32 vcc, v9, v7
	v_cndmask_b32_e64 v7, 0, 1, vcc
	v_add_u32_e32 v9, 0xfffffc10, v8
	v_or_b32_e32 v7, v11, v7
	v_lshl_or_b32 v8, v9, 12, v5
	v_cmp_gt_i32_e32 vcc, 1, v9
	v_cndmask_b32_e32 v7, v8, v7, vcc
	v_and_b32_e32 v8, 7, v7
	v_cmp_lt_i32_e32 vcc, 5, v8
	v_cmp_eq_u32_e64 s[0:1], 3, v8
	v_lshrrev_b32_e32 v7, 2, v7
	s_or_b64 vcc, s[0:1], vcc
	v_addc_co_u32_e32 v11, vcc, 0, v7, vcc
	v_add_u32_e32 v7, 0xa00, v123
	ds_read2_b32 v[7:8], v7 offset0:116 offset1:179
	v_cmp_gt_i32_e32 vcc, 31, v9
	v_cndmask_b32_e32 v11, v2, v11, vcc
	v_cmp_ne_u32_e32 vcc, 0, v5
	v_cndmask_b32_e64 v5, 0, 1, vcc
	s_waitcnt lgkmcnt(0)
	v_lshrrev_b32_e32 v13, 16, v7
	v_mul_f16_sdwa v12, v139, v13 dst_sel:DWORD dst_unused:UNUSED_PAD src0_sel:WORD_1 src1_sel:DWORD
	v_fma_f16 v12, v139, v7, v12
	v_cvt_f32_f16_e32 v12, v12
	v_lshl_or_b32 v5, v5, 9, v2
	v_cmp_eq_u32_e32 vcc, s10, v9
	v_cndmask_b32_e32 v5, v11, v5, vcc
	v_cvt_f64_f32_e32 v[11:12], v12
	v_lshrrev_b32_e32 v6, 16, v6
	v_and_or_b32 v9, v6, s11, v5
	v_and_b32_e32 v1, 0xffff, v1
	v_mul_f64 v[5:6], v[11:12], s[4:5]
	v_lshl_or_b32 v1, v9, 16, v1
	v_mov_b32_e32 v9, s9
	v_add_co_u32_e32 v3, vcc, s8, v3
	v_addc_co_u32_e32 v4, vcc, v4, v9, vcc
	global_store_dword v[3:4], v1, off
	v_and_or_b32 v1, v6, s6, v5
	v_cmp_ne_u32_e32 vcc, 0, v1
	v_cndmask_b32_e64 v1, 0, 1, vcc
	v_lshrrev_b32_e32 v5, 8, v6
	v_bfe_u32 v9, v6, 20, 11
	v_and_or_b32 v1, v5, s7, v1
	v_sub_u32_e32 v11, 0x3f1, v9
	v_or_b32_e32 v5, 0x1000, v1
	v_med3_i32 v11, v11, 0, 13
	v_lshrrev_b32_e32 v12, v11, v5
	v_lshlrev_b32_e32 v11, v11, v12
	v_mul_f16_sdwa v7, v139, v7 dst_sel:DWORD dst_unused:UNUSED_PAD src0_sel:WORD_1 src1_sel:DWORD
	v_cmp_ne_u32_e32 vcc, v11, v5
	v_fma_f16 v7, v139, v13, -v7
	v_cndmask_b32_e64 v5, 0, 1, vcc
	v_add_u32_e32 v9, 0xfffffc10, v9
	v_cvt_f32_f16_e32 v7, v7
	v_or_b32_e32 v5, v12, v5
	v_lshl_or_b32 v11, v9, 12, v1
	v_cmp_gt_i32_e32 vcc, 1, v9
	v_cndmask_b32_e32 v5, v11, v5, vcc
	v_and_b32_e32 v11, 7, v5
	v_cmp_lt_i32_e32 vcc, 5, v11
	v_cmp_eq_u32_e64 s[0:1], 3, v11
	v_cvt_f64_f32_e32 v[11:12], v7
	v_lshrrev_b32_e32 v5, 2, v5
	s_or_b64 vcc, s[0:1], vcc
	v_addc_co_u32_e32 v5, vcc, 0, v5, vcc
	v_mul_f64 v[11:12], v[11:12], s[4:5]
	v_cmp_gt_i32_e32 vcc, 31, v9
	v_cndmask_b32_e32 v5, v2, v5, vcc
	v_cmp_ne_u32_e32 vcc, 0, v1
	v_cndmask_b32_e64 v1, 0, 1, vcc
	v_lshl_or_b32 v1, v1, 9, v2
	v_cmp_eq_u32_e32 vcc, s10, v9
	v_cndmask_b32_e32 v1, v5, v1, vcc
	v_lshrrev_b32_e32 v5, 16, v6
	v_and_or_b32 v1, v5, s11, v1
	v_and_or_b32 v5, v12, s6, v11
	v_cmp_ne_u32_e32 vcc, 0, v5
	v_cndmask_b32_e64 v5, 0, 1, vcc
	v_lshrrev_b32_e32 v6, 8, v12
	v_bfe_u32 v7, v12, 20, 11
	v_and_or_b32 v5, v6, s7, v5
	v_sub_u32_e32 v9, 0x3f1, v7
	v_or_b32_e32 v6, 0x1000, v5
	v_med3_i32 v9, v9, 0, 13
	v_lshrrev_b32_e32 v11, v9, v6
	v_lshlrev_b32_e32 v9, v9, v11
	v_cmp_ne_u32_e32 vcc, v9, v6
	v_cndmask_b32_e64 v6, 0, 1, vcc
	v_add_u32_e32 v7, 0xfffffc10, v7
	v_or_b32_e32 v6, v11, v6
	v_lshl_or_b32 v9, v7, 12, v5
	v_cmp_gt_i32_e32 vcc, 1, v7
	v_cndmask_b32_e32 v6, v9, v6, vcc
	v_and_b32_e32 v9, 7, v6
	v_cmp_lt_i32_e32 vcc, 5, v9
	v_cmp_eq_u32_e64 s[0:1], 3, v9
	v_lshrrev_b32_e32 v9, 16, v10
	v_lshrrev_b32_e32 v6, 2, v6
	s_or_b64 vcc, s[0:1], vcc
	v_mul_f16_sdwa v11, v140, v9 dst_sel:DWORD dst_unused:UNUSED_PAD src0_sel:WORD_1 src1_sel:DWORD
	v_addc_co_u32_e32 v6, vcc, 0, v6, vcc
	v_fma_f16 v11, v140, v10, v11
	v_cmp_gt_i32_e32 vcc, 31, v7
	v_cvt_f32_f16_e32 v11, v11
	v_cndmask_b32_e32 v6, v2, v6, vcc
	v_cmp_ne_u32_e32 vcc, 0, v5
	v_cndmask_b32_e64 v5, 0, 1, vcc
	v_lshl_or_b32 v5, v5, 9, v2
	v_cmp_eq_u32_e32 vcc, s10, v7
	v_cndmask_b32_e32 v7, v6, v5, vcc
	v_cvt_f64_f32_e32 v[5:6], v11
	v_lshrrev_b32_e32 v11, 16, v12
	v_and_or_b32 v7, v11, s11, v7
	v_and_b32_e32 v1, 0xffff, v1
	v_mul_f64 v[5:6], v[5:6], s[4:5]
	v_lshl_or_b32 v1, v7, 16, v1
	v_mov_b32_e32 v7, s2
	v_add_co_u32_e32 v3, vcc, s3, v3
	v_addc_co_u32_e32 v4, vcc, v4, v7, vcc
	global_store_dword v[3:4], v1, off
	v_and_or_b32 v1, v6, s6, v5
	v_cmp_ne_u32_e32 vcc, 0, v1
	v_cndmask_b32_e64 v1, 0, 1, vcc
	v_lshrrev_b32_e32 v5, 8, v6
	v_bfe_u32 v7, v6, 20, 11
	v_mul_f16_sdwa v10, v140, v10 dst_sel:DWORD dst_unused:UNUSED_PAD src0_sel:WORD_1 src1_sel:DWORD
	v_and_or_b32 v1, v5, s7, v1
	v_sub_u32_e32 v11, 0x3f1, v7
	v_fma_f16 v9, v140, v9, -v10
	v_or_b32_e32 v5, 0x1000, v1
	v_med3_i32 v11, v11, 0, 13
	v_cvt_f32_f16_e32 v9, v9
	v_lshrrev_b32_e32 v12, v11, v5
	v_lshlrev_b32_e32 v11, v11, v12
	v_cmp_ne_u32_e32 vcc, v11, v5
	v_cndmask_b32_e64 v5, 0, 1, vcc
	v_add_u32_e32 v7, 0xfffffc10, v7
	v_cvt_f64_f32_e32 v[9:10], v9
	v_or_b32_e32 v5, v12, v5
	v_lshl_or_b32 v11, v7, 12, v1
	v_cmp_gt_i32_e32 vcc, 1, v7
	v_cndmask_b32_e32 v5, v11, v5, vcc
	v_and_b32_e32 v11, 7, v5
	v_cmp_lt_i32_e32 vcc, 5, v11
	v_cmp_eq_u32_e64 s[0:1], 3, v11
	v_mul_f64 v[9:10], v[9:10], s[4:5]
	v_lshrrev_b32_e32 v5, 2, v5
	s_or_b64 vcc, s[0:1], vcc
	v_addc_co_u32_e32 v5, vcc, 0, v5, vcc
	v_cmp_gt_i32_e32 vcc, 31, v7
	v_cndmask_b32_e32 v5, v2, v5, vcc
	v_cmp_ne_u32_e32 vcc, 0, v1
	v_cndmask_b32_e64 v1, 0, 1, vcc
	v_lshl_or_b32 v1, v1, 9, v2
	v_cmp_eq_u32_e32 vcc, s10, v7
	v_cndmask_b32_e32 v1, v5, v1, vcc
	v_lshrrev_b32_e32 v5, 16, v6
	v_and_or_b32 v1, v5, s11, v1
	v_and_or_b32 v5, v10, s6, v9
	v_cmp_ne_u32_e32 vcc, 0, v5
	v_cndmask_b32_e64 v5, 0, 1, vcc
	v_lshrrev_b32_e32 v6, 8, v10
	v_and_or_b32 v7, v6, s7, v5
	v_bfe_u32 v6, v10, 20, 11
	v_sub_u32_e32 v9, 0x3f1, v6
	v_or_b32_e32 v5, 0x1000, v7
	v_med3_i32 v9, v9, 0, 13
	v_lshrrev_b32_e32 v11, v9, v5
	v_lshlrev_b32_e32 v9, v9, v11
	v_cmp_ne_u32_e32 vcc, v9, v5
	v_cndmask_b32_e64 v5, 0, 1, vcc
	v_add_u32_e32 v9, 0xfffffc10, v6
	v_or_b32_e32 v5, v11, v5
	v_lshl_or_b32 v6, v9, 12, v7
	v_cmp_gt_i32_e32 vcc, 1, v9
	v_cndmask_b32_e32 v5, v6, v5, vcc
	v_and_b32_e32 v6, 7, v5
	v_cmp_lt_i32_e32 vcc, 5, v6
	v_cmp_eq_u32_e64 s[0:1], 3, v6
	v_lshrrev_b32_e32 v5, 2, v5
	s_or_b64 vcc, s[0:1], vcc
	v_addc_co_u32_e32 v11, vcc, 0, v5, vcc
	v_add_u32_e32 v5, 0x200, v123
	ds_read2_b32 v[5:6], v5 offset0:124 offset1:187
	v_cmp_gt_i32_e32 vcc, 31, v9
	v_cndmask_b32_e32 v11, v2, v11, vcc
	v_cmp_ne_u32_e32 vcc, 0, v7
	v_cndmask_b32_e64 v7, 0, 1, vcc
	s_waitcnt lgkmcnt(0)
	v_lshrrev_b32_e32 v13, 16, v5
	v_mul_f16_sdwa v12, v138, v13 dst_sel:DWORD dst_unused:UNUSED_PAD src0_sel:WORD_1 src1_sel:DWORD
	v_fma_f16 v12, v138, v5, v12
	v_cvt_f32_f16_e32 v12, v12
	v_lshl_or_b32 v7, v7, 9, v2
	v_cmp_eq_u32_e32 vcc, s10, v9
	v_cndmask_b32_e32 v7, v11, v7, vcc
	v_cvt_f64_f32_e32 v[11:12], v12
	v_lshrrev_b32_e32 v9, 16, v10
	v_and_or_b32 v7, v9, s11, v7
	v_and_b32_e32 v1, 0xffff, v1
	v_mul_f64 v[9:10], v[11:12], s[4:5]
	v_lshl_or_b32 v1, v7, 16, v1
	v_mov_b32_e32 v7, s2
	v_add_co_u32_e32 v3, vcc, s3, v3
	v_addc_co_u32_e32 v4, vcc, v4, v7, vcc
	global_store_dword v[3:4], v1, off
	v_and_or_b32 v1, v10, s6, v9
	v_cmp_ne_u32_e32 vcc, 0, v1
	v_cndmask_b32_e64 v1, 0, 1, vcc
	v_lshrrev_b32_e32 v7, 8, v10
	v_bfe_u32 v9, v10, 20, 11
	v_and_or_b32 v1, v7, s7, v1
	v_sub_u32_e32 v11, 0x3f1, v9
	v_or_b32_e32 v7, 0x1000, v1
	v_med3_i32 v11, v11, 0, 13
	v_lshrrev_b32_e32 v12, v11, v7
	v_lshlrev_b32_e32 v11, v11, v12
	v_mul_f16_sdwa v5, v138, v5 dst_sel:DWORD dst_unused:UNUSED_PAD src0_sel:WORD_1 src1_sel:DWORD
	v_cmp_ne_u32_e32 vcc, v11, v7
	v_fma_f16 v5, v138, v13, -v5
	v_cndmask_b32_e64 v7, 0, 1, vcc
	v_add_u32_e32 v9, 0xfffffc10, v9
	v_cvt_f32_f16_e32 v5, v5
	v_or_b32_e32 v7, v12, v7
	v_lshl_or_b32 v11, v9, 12, v1
	v_cmp_gt_i32_e32 vcc, 1, v9
	v_cndmask_b32_e32 v7, v11, v7, vcc
	v_and_b32_e32 v11, 7, v7
	v_cmp_lt_i32_e32 vcc, 5, v11
	v_cmp_eq_u32_e64 s[0:1], 3, v11
	v_cvt_f64_f32_e32 v[11:12], v5
	v_lshrrev_b32_e32 v7, 2, v7
	s_or_b64 vcc, s[0:1], vcc
	v_addc_co_u32_e32 v5, vcc, 0, v7, vcc
	v_mul_f64 v[11:12], v[11:12], s[4:5]
	v_cmp_gt_i32_e32 vcc, 31, v9
	v_cndmask_b32_e32 v5, v2, v5, vcc
	v_cmp_ne_u32_e32 vcc, 0, v1
	v_cndmask_b32_e64 v1, 0, 1, vcc
	v_lshl_or_b32 v1, v1, 9, v2
	v_cmp_eq_u32_e32 vcc, s10, v9
	v_cndmask_b32_e32 v1, v5, v1, vcc
	v_lshrrev_b32_e32 v5, 16, v10
	v_and_or_b32 v1, v5, s11, v1
	v_and_or_b32 v5, v12, s6, v11
	v_cmp_ne_u32_e32 vcc, 0, v5
	v_cndmask_b32_e64 v5, 0, 1, vcc
	v_lshrrev_b32_e32 v7, 8, v12
	v_bfe_u32 v9, v12, 20, 11
	v_and_or_b32 v5, v7, s7, v5
	v_sub_u32_e32 v10, 0x3f1, v9
	v_or_b32_e32 v7, 0x1000, v5
	v_med3_i32 v10, v10, 0, 13
	v_lshrrev_b32_e32 v11, v10, v7
	v_lshlrev_b32_e32 v10, v10, v11
	v_cmp_ne_u32_e32 vcc, v10, v7
	v_cndmask_b32_e64 v7, 0, 1, vcc
	v_add_u32_e32 v9, 0xfffffc10, v9
	v_or_b32_e32 v7, v11, v7
	v_lshl_or_b32 v10, v9, 12, v5
	v_cmp_gt_i32_e32 vcc, 1, v9
	v_cndmask_b32_e32 v7, v10, v7, vcc
	v_and_b32_e32 v10, 7, v7
	v_lshrrev_b32_e32 v11, 16, v8
	v_cmp_lt_i32_e32 vcc, 5, v10
	v_cmp_eq_u32_e64 s[0:1], 3, v10
	v_mul_f16_sdwa v10, v136, v11 dst_sel:DWORD dst_unused:UNUSED_PAD src0_sel:WORD_1 src1_sel:DWORD
	v_fma_f16 v10, v136, v8, v10
	v_lshrrev_b32_e32 v7, 2, v7
	s_or_b64 vcc, s[0:1], vcc
	v_cvt_f32_f16_e32 v10, v10
	v_addc_co_u32_e32 v7, vcc, 0, v7, vcc
	v_cmp_gt_i32_e32 vcc, 31, v9
	v_cndmask_b32_e32 v7, v2, v7, vcc
	v_cmp_ne_u32_e32 vcc, 0, v5
	v_cndmask_b32_e64 v5, 0, 1, vcc
	v_cmp_eq_u32_e32 vcc, s10, v9
	v_cvt_f64_f32_e32 v[9:10], v10
	v_lshl_or_b32 v5, v5, 9, v2
	v_cndmask_b32_e32 v5, v7, v5, vcc
	v_lshrrev_b32_e32 v7, 16, v12
	v_mul_f64 v[9:10], v[9:10], s[4:5]
	v_and_or_b32 v5, v7, s11, v5
	v_and_b32_e32 v1, 0xffff, v1
	v_lshl_or_b32 v1, v5, 16, v1
	v_mov_b32_e32 v5, s9
	v_add_co_u32_e32 v3, vcc, s8, v3
	v_addc_co_u32_e32 v4, vcc, v4, v5, vcc
	global_store_dword v[3:4], v1, off
	v_and_or_b32 v1, v10, s6, v9
	v_cmp_ne_u32_e32 vcc, 0, v1
	v_cndmask_b32_e64 v1, 0, 1, vcc
	v_lshrrev_b32_e32 v5, 8, v10
	v_bfe_u32 v7, v10, 20, 11
	v_and_or_b32 v1, v5, s7, v1
	v_sub_u32_e32 v9, 0x3f1, v7
	v_or_b32_e32 v5, 0x1000, v1
	v_med3_i32 v9, v9, 0, 13
	v_lshrrev_b32_e32 v12, v9, v5
	v_lshlrev_b32_e32 v9, v9, v12
	v_mul_f16_sdwa v8, v136, v8 dst_sel:DWORD dst_unused:UNUSED_PAD src0_sel:WORD_1 src1_sel:DWORD
	v_cmp_ne_u32_e32 vcc, v9, v5
	v_fma_f16 v8, v136, v11, -v8
	v_cndmask_b32_e64 v5, 0, 1, vcc
	v_add_u32_e32 v9, 0xfffffc10, v7
	v_cvt_f32_f16_e32 v8, v8
	v_or_b32_e32 v5, v12, v5
	v_lshl_or_b32 v7, v9, 12, v1
	v_cmp_gt_i32_e32 vcc, 1, v9
	v_cndmask_b32_e32 v5, v7, v5, vcc
	v_and_b32_e32 v7, 7, v5
	v_cmp_lt_i32_e32 vcc, 5, v7
	v_cmp_eq_u32_e64 s[0:1], 3, v7
	v_cvt_f64_f32_e32 v[7:8], v8
	v_lshrrev_b32_e32 v5, 2, v5
	s_or_b64 vcc, s[0:1], vcc
	v_addc_co_u32_e32 v5, vcc, 0, v5, vcc
	v_mul_f64 v[7:8], v[7:8], s[4:5]
	v_cmp_gt_i32_e32 vcc, 31, v9
	v_cndmask_b32_e32 v5, v2, v5, vcc
	v_cmp_ne_u32_e32 vcc, 0, v1
	v_cndmask_b32_e64 v1, 0, 1, vcc
	v_lshl_or_b32 v1, v1, 9, v2
	v_cmp_eq_u32_e32 vcc, s10, v9
	v_cndmask_b32_e32 v1, v5, v1, vcc
	v_lshrrev_b32_e32 v5, 16, v10
	v_and_or_b32 v1, v5, s11, v1
	v_and_or_b32 v5, v8, s6, v7
	v_cmp_ne_u32_e32 vcc, 0, v5
	v_cndmask_b32_e64 v5, 0, 1, vcc
	v_lshrrev_b32_e32 v7, 8, v8
	v_bfe_u32 v9, v8, 20, 11
	v_and_or_b32 v5, v7, s7, v5
	v_sub_u32_e32 v10, 0x3f1, v9
	v_or_b32_e32 v7, 0x1000, v5
	v_med3_i32 v10, v10, 0, 13
	v_lshrrev_b32_e32 v11, v10, v7
	v_lshlrev_b32_e32 v10, v10, v11
	v_cmp_ne_u32_e32 vcc, v10, v7
	v_cndmask_b32_e64 v7, 0, 1, vcc
	v_or_b32_e32 v7, v11, v7
	v_add_u32_e32 v11, 0xfffffc10, v9
	v_lshl_or_b32 v9, v11, 12, v5
	v_cmp_gt_i32_e32 vcc, 1, v11
	v_cndmask_b32_e32 v7, v9, v7, vcc
	v_and_b32_e32 v9, 7, v7
	v_cmp_lt_i32_e32 vcc, 5, v9
	v_cmp_eq_u32_e64 s[0:1], 3, v9
	v_add_u32_e32 v9, 0x1400, v123
	ds_read2_b32 v[9:10], v9 offset0:106 offset1:169
	v_lshrrev_b32_e32 v7, 2, v7
	s_or_b64 vcc, s[0:1], vcc
	v_addc_co_u32_e32 v7, vcc, 0, v7, vcc
	s_waitcnt lgkmcnt(0)
	v_lshrrev_b32_e32 v13, 16, v9
	v_mul_f16_sdwa v12, v137, v13 dst_sel:DWORD dst_unused:UNUSED_PAD src0_sel:WORD_1 src1_sel:DWORD
	v_fma_f16 v12, v137, v9, v12
	v_cvt_f32_f16_e32 v12, v12
	v_cmp_gt_i32_e32 vcc, 31, v11
	v_cndmask_b32_e32 v7, v2, v7, vcc
	v_cmp_ne_u32_e32 vcc, 0, v5
	v_cndmask_b32_e64 v5, 0, 1, vcc
	v_cmp_eq_u32_e32 vcc, s10, v11
	v_cvt_f64_f32_e32 v[11:12], v12
	v_lshl_or_b32 v5, v5, 9, v2
	v_cndmask_b32_e32 v5, v7, v5, vcc
	v_lshrrev_b32_e32 v7, 16, v8
	v_and_or_b32 v5, v7, s11, v5
	v_mul_f64 v[7:8], v[11:12], s[4:5]
	v_and_b32_e32 v1, 0xffff, v1
	v_lshl_or_b32 v1, v5, 16, v1
	v_mov_b32_e32 v5, s2
	v_add_co_u32_e32 v3, vcc, s3, v3
	v_addc_co_u32_e32 v4, vcc, v4, v5, vcc
	global_store_dword v[3:4], v1, off
	v_and_or_b32 v1, v8, s6, v7
	v_cmp_ne_u32_e32 vcc, 0, v1
	v_cndmask_b32_e64 v1, 0, 1, vcc
	v_lshrrev_b32_e32 v5, 8, v8
	v_bfe_u32 v7, v8, 20, 11
	v_and_or_b32 v1, v5, s7, v1
	v_sub_u32_e32 v11, 0x3f1, v7
	v_or_b32_e32 v5, 0x1000, v1
	v_med3_i32 v11, v11, 0, 13
	v_lshrrev_b32_e32 v12, v11, v5
	v_lshlrev_b32_e32 v11, v11, v12
	v_mul_f16_sdwa v9, v137, v9 dst_sel:DWORD dst_unused:UNUSED_PAD src0_sel:WORD_1 src1_sel:DWORD
	v_cmp_ne_u32_e32 vcc, v11, v5
	v_fma_f16 v9, v137, v13, -v9
	v_cndmask_b32_e64 v5, 0, 1, vcc
	v_add_u32_e32 v7, 0xfffffc10, v7
	v_cvt_f32_f16_e32 v9, v9
	v_or_b32_e32 v5, v12, v5
	v_lshl_or_b32 v11, v7, 12, v1
	v_cmp_gt_i32_e32 vcc, 1, v7
	v_cndmask_b32_e32 v5, v11, v5, vcc
	v_and_b32_e32 v11, 7, v5
	v_cmp_lt_i32_e32 vcc, 5, v11
	v_cmp_eq_u32_e64 s[0:1], 3, v11
	v_cvt_f64_f32_e32 v[11:12], v9
	v_lshrrev_b32_e32 v5, 2, v5
	s_or_b64 vcc, s[0:1], vcc
	v_addc_co_u32_e32 v5, vcc, 0, v5, vcc
	v_mul_f64 v[11:12], v[11:12], s[4:5]
	v_cmp_gt_i32_e32 vcc, 31, v7
	v_cndmask_b32_e32 v5, v2, v5, vcc
	v_cmp_ne_u32_e32 vcc, 0, v1
	v_cndmask_b32_e64 v1, 0, 1, vcc
	v_lshl_or_b32 v1, v1, 9, v2
	v_cmp_eq_u32_e32 vcc, s10, v7
	v_cndmask_b32_e32 v1, v5, v1, vcc
	v_lshrrev_b32_e32 v5, 16, v8
	v_and_or_b32 v1, v5, s11, v1
	v_and_or_b32 v5, v12, s6, v11
	v_cmp_ne_u32_e32 vcc, 0, v5
	v_cndmask_b32_e64 v5, 0, 1, vcc
	v_lshrrev_b32_e32 v7, 8, v12
	v_bfe_u32 v8, v12, 20, 11
	v_and_or_b32 v5, v7, s7, v5
	v_sub_u32_e32 v9, 0x3f1, v8
	v_or_b32_e32 v7, 0x1000, v5
	v_med3_i32 v9, v9, 0, 13
	v_lshrrev_b32_e32 v11, v9, v7
	v_lshlrev_b32_e32 v9, v9, v11
	v_cmp_ne_u32_e32 vcc, v9, v7
	v_cndmask_b32_e64 v7, 0, 1, vcc
	v_add_u32_e32 v8, 0xfffffc10, v8
	v_or_b32_e32 v7, v11, v7
	v_lshl_or_b32 v9, v8, 12, v5
	v_cmp_gt_i32_e32 vcc, 1, v8
	v_cndmask_b32_e32 v7, v9, v7, vcc
	v_and_b32_e32 v9, 7, v7
	v_cmp_lt_i32_e32 vcc, 5, v9
	v_cmp_eq_u32_e64 s[0:1], 3, v9
	v_lshrrev_b32_e32 v9, 16, v6
	v_lshrrev_b32_e32 v7, 2, v7
	s_or_b64 vcc, s[0:1], vcc
	v_mul_f16_sdwa v11, v135, v9 dst_sel:DWORD dst_unused:UNUSED_PAD src0_sel:WORD_1 src1_sel:DWORD
	v_addc_co_u32_e32 v7, vcc, 0, v7, vcc
	v_fma_f16 v11, v135, v6, v11
	v_cmp_gt_i32_e32 vcc, 31, v8
	v_cvt_f32_f16_e32 v11, v11
	v_cndmask_b32_e32 v7, v2, v7, vcc
	v_cmp_ne_u32_e32 vcc, 0, v5
	v_cndmask_b32_e64 v5, 0, 1, vcc
	v_lshl_or_b32 v5, v5, 9, v2
	v_cmp_eq_u32_e32 vcc, s10, v8
	v_cndmask_b32_e32 v5, v7, v5, vcc
	v_cvt_f64_f32_e32 v[7:8], v11
	v_lshrrev_b32_e32 v11, 16, v12
	v_and_or_b32 v5, v11, s11, v5
	v_and_b32_e32 v1, 0xffff, v1
	v_mul_f64 v[7:8], v[7:8], s[4:5]
	v_lshl_or_b32 v1, v5, 16, v1
	v_mov_b32_e32 v5, s2
	v_add_co_u32_e32 v3, vcc, s3, v3
	v_addc_co_u32_e32 v4, vcc, v4, v5, vcc
	global_store_dword v[3:4], v1, off
	v_and_or_b32 v1, v8, s6, v7
	v_cmp_ne_u32_e32 vcc, 0, v1
	v_cndmask_b32_e64 v1, 0, 1, vcc
	v_lshrrev_b32_e32 v5, 8, v8
	v_bfe_u32 v7, v8, 20, 11
	v_and_or_b32 v1, v5, s7, v1
	v_sub_u32_e32 v11, 0x3f1, v7
	v_or_b32_e32 v5, 0x1000, v1
	v_med3_i32 v11, v11, 0, 13
	v_lshrrev_b32_e32 v12, v11, v5
	v_mul_f16_sdwa v6, v135, v6 dst_sel:DWORD dst_unused:UNUSED_PAD src0_sel:WORD_1 src1_sel:DWORD
	v_lshlrev_b32_e32 v11, v11, v12
	v_fma_f16 v6, v135, v9, -v6
	v_cmp_ne_u32_e32 vcc, v11, v5
	v_cvt_f32_f16_e32 v6, v6
	v_cndmask_b32_e64 v5, 0, 1, vcc
	v_add_u32_e32 v7, 0xfffffc10, v7
	v_or_b32_e32 v5, v12, v5
	v_lshl_or_b32 v11, v7, 12, v1
	v_cmp_gt_i32_e32 vcc, 1, v7
	v_cndmask_b32_e32 v5, v11, v5, vcc
	v_and_b32_e32 v11, 7, v5
	v_lshrrev_b32_e32 v9, 2, v5
	v_cvt_f64_f32_e32 v[5:6], v6
	v_cmp_lt_i32_e32 vcc, 5, v11
	v_cmp_eq_u32_e64 s[0:1], 3, v11
	s_or_b64 vcc, s[0:1], vcc
	v_mul_f64 v[5:6], v[5:6], s[4:5]
	v_addc_co_u32_e32 v9, vcc, 0, v9, vcc
	v_cmp_gt_i32_e32 vcc, 31, v7
	v_cndmask_b32_e32 v9, v2, v9, vcc
	v_cmp_ne_u32_e32 vcc, 0, v1
	v_cndmask_b32_e64 v1, 0, 1, vcc
	v_lshl_or_b32 v1, v1, 9, v2
	v_cmp_eq_u32_e32 vcc, s10, v7
	v_and_or_b32 v5, v6, s6, v5
	v_cndmask_b32_e32 v1, v9, v1, vcc
	v_lshrrev_b32_e32 v7, 16, v8
	v_cmp_ne_u32_e32 vcc, 0, v5
	v_and_or_b32 v1, v7, s11, v1
	v_cndmask_b32_e64 v5, 0, 1, vcc
	v_lshrrev_b32_e32 v7, 8, v6
	v_bfe_u32 v8, v6, 20, 11
	v_and_or_b32 v5, v7, s7, v5
	v_sub_u32_e32 v9, 0x3f1, v8
	v_or_b32_e32 v7, 0x1000, v5
	v_med3_i32 v9, v9, 0, 13
	v_lshrrev_b32_e32 v11, v9, v7
	v_lshlrev_b32_e32 v9, v9, v11
	v_cmp_ne_u32_e32 vcc, v9, v7
	v_cndmask_b32_e64 v7, 0, 1, vcc
	v_add_u32_e32 v9, 0xfffffc10, v8
	v_or_b32_e32 v7, v11, v7
	v_lshl_or_b32 v8, v9, 12, v5
	v_cmp_gt_i32_e32 vcc, 1, v9
	v_cndmask_b32_e32 v7, v8, v7, vcc
	v_and_b32_e32 v8, 7, v7
	v_cmp_lt_i32_e32 vcc, 5, v8
	v_cmp_eq_u32_e64 s[0:1], 3, v8
	v_lshrrev_b32_e32 v7, 2, v7
	s_or_b64 vcc, s[0:1], vcc
	v_addc_co_u32_e32 v11, vcc, 0, v7, vcc
	v_add_u32_e32 v7, 0xc00, v123
	ds_read2_b32 v[7:8], v7 offset0:114 offset1:177
	v_cmp_gt_i32_e32 vcc, 31, v9
	v_cndmask_b32_e32 v11, v2, v11, vcc
	v_cmp_ne_u32_e32 vcc, 0, v5
	v_cndmask_b32_e64 v5, 0, 1, vcc
	s_waitcnt lgkmcnt(0)
	v_lshrrev_b32_e32 v13, 16, v7
	v_mul_f16_sdwa v12, v133, v13 dst_sel:DWORD dst_unused:UNUSED_PAD src0_sel:WORD_1 src1_sel:DWORD
	v_fma_f16 v12, v133, v7, v12
	v_cvt_f32_f16_e32 v12, v12
	v_lshl_or_b32 v5, v5, 9, v2
	v_cmp_eq_u32_e32 vcc, s10, v9
	v_cndmask_b32_e32 v5, v11, v5, vcc
	v_cvt_f64_f32_e32 v[11:12], v12
	v_lshrrev_b32_e32 v6, 16, v6
	v_and_or_b32 v9, v6, s11, v5
	v_and_b32_e32 v1, 0xffff, v1
	v_mul_f64 v[5:6], v[11:12], s[4:5]
	v_lshl_or_b32 v1, v9, 16, v1
	v_mov_b32_e32 v9, s9
	v_add_co_u32_e32 v3, vcc, s8, v3
	v_addc_co_u32_e32 v4, vcc, v4, v9, vcc
	global_store_dword v[3:4], v1, off
	v_and_or_b32 v1, v6, s6, v5
	v_cmp_ne_u32_e32 vcc, 0, v1
	v_cndmask_b32_e64 v1, 0, 1, vcc
	v_lshrrev_b32_e32 v5, 8, v6
	v_bfe_u32 v9, v6, 20, 11
	v_and_or_b32 v1, v5, s7, v1
	v_sub_u32_e32 v11, 0x3f1, v9
	v_or_b32_e32 v5, 0x1000, v1
	v_med3_i32 v11, v11, 0, 13
	v_lshrrev_b32_e32 v12, v11, v5
	v_lshlrev_b32_e32 v11, v11, v12
	v_mul_f16_sdwa v7, v133, v7 dst_sel:DWORD dst_unused:UNUSED_PAD src0_sel:WORD_1 src1_sel:DWORD
	v_cmp_ne_u32_e32 vcc, v11, v5
	v_fma_f16 v7, v133, v13, -v7
	v_cndmask_b32_e64 v5, 0, 1, vcc
	v_add_u32_e32 v9, 0xfffffc10, v9
	v_cvt_f32_f16_e32 v7, v7
	v_or_b32_e32 v5, v12, v5
	v_lshl_or_b32 v11, v9, 12, v1
	v_cmp_gt_i32_e32 vcc, 1, v9
	v_cndmask_b32_e32 v5, v11, v5, vcc
	v_and_b32_e32 v11, 7, v5
	v_cmp_lt_i32_e32 vcc, 5, v11
	v_cmp_eq_u32_e64 s[0:1], 3, v11
	v_cvt_f64_f32_e32 v[11:12], v7
	v_lshrrev_b32_e32 v5, 2, v5
	s_or_b64 vcc, s[0:1], vcc
	v_addc_co_u32_e32 v5, vcc, 0, v5, vcc
	v_mul_f64 v[11:12], v[11:12], s[4:5]
	v_cmp_gt_i32_e32 vcc, 31, v9
	v_cndmask_b32_e32 v5, v2, v5, vcc
	v_cmp_ne_u32_e32 vcc, 0, v1
	v_cndmask_b32_e64 v1, 0, 1, vcc
	v_lshl_or_b32 v1, v1, 9, v2
	v_cmp_eq_u32_e32 vcc, s10, v9
	v_cndmask_b32_e32 v1, v5, v1, vcc
	v_lshrrev_b32_e32 v5, 16, v6
	v_and_or_b32 v1, v5, s11, v1
	v_and_or_b32 v5, v12, s6, v11
	v_cmp_ne_u32_e32 vcc, 0, v5
	v_cndmask_b32_e64 v5, 0, 1, vcc
	v_lshrrev_b32_e32 v6, 8, v12
	v_bfe_u32 v7, v12, 20, 11
	v_and_or_b32 v5, v6, s7, v5
	v_sub_u32_e32 v9, 0x3f1, v7
	v_or_b32_e32 v6, 0x1000, v5
	v_med3_i32 v9, v9, 0, 13
	v_lshrrev_b32_e32 v11, v9, v6
	v_lshlrev_b32_e32 v9, v9, v11
	v_cmp_ne_u32_e32 vcc, v9, v6
	v_cndmask_b32_e64 v6, 0, 1, vcc
	v_add_u32_e32 v7, 0xfffffc10, v7
	v_or_b32_e32 v6, v11, v6
	v_lshl_or_b32 v9, v7, 12, v5
	v_cmp_gt_i32_e32 vcc, 1, v7
	v_cndmask_b32_e32 v6, v9, v6, vcc
	v_and_b32_e32 v9, 7, v6
	v_cmp_lt_i32_e32 vcc, 5, v9
	v_cmp_eq_u32_e64 s[0:1], 3, v9
	v_lshrrev_b32_e32 v9, 16, v10
	v_lshrrev_b32_e32 v6, 2, v6
	s_or_b64 vcc, s[0:1], vcc
	v_mul_f16_sdwa v11, v134, v9 dst_sel:DWORD dst_unused:UNUSED_PAD src0_sel:WORD_1 src1_sel:DWORD
	v_addc_co_u32_e32 v6, vcc, 0, v6, vcc
	v_fma_f16 v11, v134, v10, v11
	v_cmp_gt_i32_e32 vcc, 31, v7
	v_cvt_f32_f16_e32 v11, v11
	v_cndmask_b32_e32 v6, v2, v6, vcc
	v_cmp_ne_u32_e32 vcc, 0, v5
	v_cndmask_b32_e64 v5, 0, 1, vcc
	v_lshl_or_b32 v5, v5, 9, v2
	v_cmp_eq_u32_e32 vcc, s10, v7
	v_cndmask_b32_e32 v7, v6, v5, vcc
	v_cvt_f64_f32_e32 v[5:6], v11
	v_lshrrev_b32_e32 v11, 16, v12
	v_and_or_b32 v7, v11, s11, v7
	v_and_b32_e32 v1, 0xffff, v1
	v_mul_f64 v[5:6], v[5:6], s[4:5]
	v_lshl_or_b32 v1, v7, 16, v1
	v_mov_b32_e32 v7, s2
	v_add_co_u32_e32 v3, vcc, s3, v3
	v_addc_co_u32_e32 v4, vcc, v4, v7, vcc
	global_store_dword v[3:4], v1, off
	v_and_or_b32 v1, v6, s6, v5
	v_cmp_ne_u32_e32 vcc, 0, v1
	v_cndmask_b32_e64 v1, 0, 1, vcc
	v_lshrrev_b32_e32 v5, 8, v6
	v_bfe_u32 v7, v6, 20, 11
	v_mul_f16_sdwa v10, v134, v10 dst_sel:DWORD dst_unused:UNUSED_PAD src0_sel:WORD_1 src1_sel:DWORD
	v_and_or_b32 v1, v5, s7, v1
	v_sub_u32_e32 v11, 0x3f1, v7
	v_fma_f16 v9, v134, v9, -v10
	v_or_b32_e32 v5, 0x1000, v1
	v_med3_i32 v11, v11, 0, 13
	v_cvt_f32_f16_e32 v9, v9
	v_lshrrev_b32_e32 v12, v11, v5
	v_lshlrev_b32_e32 v11, v11, v12
	v_cmp_ne_u32_e32 vcc, v11, v5
	v_cndmask_b32_e64 v5, 0, 1, vcc
	v_add_u32_e32 v7, 0xfffffc10, v7
	v_cvt_f64_f32_e32 v[9:10], v9
	v_or_b32_e32 v5, v12, v5
	v_lshl_or_b32 v11, v7, 12, v1
	v_cmp_gt_i32_e32 vcc, 1, v7
	v_cndmask_b32_e32 v5, v11, v5, vcc
	v_and_b32_e32 v11, 7, v5
	v_cmp_lt_i32_e32 vcc, 5, v11
	v_cmp_eq_u32_e64 s[0:1], 3, v11
	v_mul_f64 v[9:10], v[9:10], s[4:5]
	v_lshrrev_b32_e32 v5, 2, v5
	s_or_b64 vcc, s[0:1], vcc
	v_addc_co_u32_e32 v5, vcc, 0, v5, vcc
	v_cmp_gt_i32_e32 vcc, 31, v7
	v_cndmask_b32_e32 v5, v2, v5, vcc
	v_cmp_ne_u32_e32 vcc, 0, v1
	v_cndmask_b32_e64 v1, 0, 1, vcc
	v_lshl_or_b32 v1, v1, 9, v2
	v_cmp_eq_u32_e32 vcc, s10, v7
	v_cndmask_b32_e32 v1, v5, v1, vcc
	v_lshrrev_b32_e32 v5, 16, v6
	v_and_or_b32 v1, v5, s11, v1
	v_and_or_b32 v5, v10, s6, v9
	v_cmp_ne_u32_e32 vcc, 0, v5
	v_cndmask_b32_e64 v5, 0, 1, vcc
	v_lshrrev_b32_e32 v6, 8, v10
	v_and_or_b32 v7, v6, s7, v5
	v_bfe_u32 v6, v10, 20, 11
	v_sub_u32_e32 v9, 0x3f1, v6
	v_or_b32_e32 v5, 0x1000, v7
	v_med3_i32 v9, v9, 0, 13
	v_lshrrev_b32_e32 v11, v9, v5
	v_lshlrev_b32_e32 v9, v9, v11
	v_cmp_ne_u32_e32 vcc, v9, v5
	v_cndmask_b32_e64 v5, 0, 1, vcc
	v_add_u32_e32 v9, 0xfffffc10, v6
	v_or_b32_e32 v5, v11, v5
	v_lshl_or_b32 v6, v9, 12, v7
	v_cmp_gt_i32_e32 vcc, 1, v9
	v_cndmask_b32_e32 v5, v6, v5, vcc
	v_and_b32_e32 v6, 7, v5
	v_cmp_lt_i32_e32 vcc, 5, v6
	v_cmp_eq_u32_e64 s[0:1], 3, v6
	v_lshrrev_b32_e32 v5, 2, v5
	s_or_b64 vcc, s[0:1], vcc
	v_addc_co_u32_e32 v11, vcc, 0, v5, vcc
	v_add_u32_e32 v5, 0x400, v123
	ds_read2_b32 v[5:6], v5 offset0:122 offset1:185
	v_cmp_gt_i32_e32 vcc, 31, v9
	v_cndmask_b32_e32 v11, v2, v11, vcc
	v_cmp_ne_u32_e32 vcc, 0, v7
	v_cndmask_b32_e64 v7, 0, 1, vcc
	s_waitcnt lgkmcnt(0)
	v_lshrrev_b32_e32 v13, 16, v5
	v_mul_f16_sdwa v12, v132, v13 dst_sel:DWORD dst_unused:UNUSED_PAD src0_sel:WORD_1 src1_sel:DWORD
	v_fma_f16 v12, v132, v5, v12
	v_cvt_f32_f16_e32 v12, v12
	v_lshl_or_b32 v7, v7, 9, v2
	v_cmp_eq_u32_e32 vcc, s10, v9
	v_cndmask_b32_e32 v7, v11, v7, vcc
	v_cvt_f64_f32_e32 v[11:12], v12
	v_lshrrev_b32_e32 v9, 16, v10
	v_and_or_b32 v7, v9, s11, v7
	v_and_b32_e32 v1, 0xffff, v1
	v_mul_f64 v[9:10], v[11:12], s[4:5]
	v_lshl_or_b32 v1, v7, 16, v1
	v_mov_b32_e32 v7, s2
	v_add_co_u32_e32 v3, vcc, s3, v3
	v_addc_co_u32_e32 v4, vcc, v4, v7, vcc
	global_store_dword v[3:4], v1, off
	v_and_or_b32 v1, v10, s6, v9
	v_cmp_ne_u32_e32 vcc, 0, v1
	v_cndmask_b32_e64 v1, 0, 1, vcc
	v_lshrrev_b32_e32 v7, 8, v10
	v_bfe_u32 v9, v10, 20, 11
	v_and_or_b32 v1, v7, s7, v1
	v_sub_u32_e32 v11, 0x3f1, v9
	v_or_b32_e32 v7, 0x1000, v1
	v_med3_i32 v11, v11, 0, 13
	v_lshrrev_b32_e32 v12, v11, v7
	v_lshlrev_b32_e32 v11, v11, v12
	v_mul_f16_sdwa v5, v132, v5 dst_sel:DWORD dst_unused:UNUSED_PAD src0_sel:WORD_1 src1_sel:DWORD
	v_cmp_ne_u32_e32 vcc, v11, v7
	v_fma_f16 v5, v132, v13, -v5
	v_cndmask_b32_e64 v7, 0, 1, vcc
	v_add_u32_e32 v9, 0xfffffc10, v9
	v_cvt_f32_f16_e32 v5, v5
	v_or_b32_e32 v7, v12, v7
	v_lshl_or_b32 v11, v9, 12, v1
	v_cmp_gt_i32_e32 vcc, 1, v9
	v_cndmask_b32_e32 v7, v11, v7, vcc
	v_and_b32_e32 v11, 7, v7
	v_cmp_lt_i32_e32 vcc, 5, v11
	v_cmp_eq_u32_e64 s[0:1], 3, v11
	v_cvt_f64_f32_e32 v[11:12], v5
	v_lshrrev_b32_e32 v7, 2, v7
	s_or_b64 vcc, s[0:1], vcc
	v_addc_co_u32_e32 v5, vcc, 0, v7, vcc
	v_mul_f64 v[11:12], v[11:12], s[4:5]
	v_cmp_gt_i32_e32 vcc, 31, v9
	v_cndmask_b32_e32 v5, v2, v5, vcc
	v_cmp_ne_u32_e32 vcc, 0, v1
	v_cndmask_b32_e64 v1, 0, 1, vcc
	v_lshl_or_b32 v1, v1, 9, v2
	v_cmp_eq_u32_e32 vcc, s10, v9
	v_cndmask_b32_e32 v1, v5, v1, vcc
	v_lshrrev_b32_e32 v5, 16, v10
	v_and_or_b32 v1, v5, s11, v1
	v_and_or_b32 v5, v12, s6, v11
	v_cmp_ne_u32_e32 vcc, 0, v5
	v_cndmask_b32_e64 v5, 0, 1, vcc
	v_lshrrev_b32_e32 v7, 8, v12
	v_bfe_u32 v9, v12, 20, 11
	v_and_or_b32 v5, v7, s7, v5
	v_sub_u32_e32 v10, 0x3f1, v9
	v_or_b32_e32 v7, 0x1000, v5
	v_med3_i32 v10, v10, 0, 13
	v_lshrrev_b32_e32 v11, v10, v7
	v_lshlrev_b32_e32 v10, v10, v11
	v_cmp_ne_u32_e32 vcc, v10, v7
	v_cndmask_b32_e64 v7, 0, 1, vcc
	v_add_u32_e32 v9, 0xfffffc10, v9
	v_or_b32_e32 v7, v11, v7
	v_lshl_or_b32 v10, v9, 12, v5
	v_cmp_gt_i32_e32 vcc, 1, v9
	v_cndmask_b32_e32 v7, v10, v7, vcc
	v_and_b32_e32 v10, 7, v7
	v_lshrrev_b32_e32 v11, 16, v8
	v_cmp_lt_i32_e32 vcc, 5, v10
	v_cmp_eq_u32_e64 s[0:1], 3, v10
	v_mul_f16_sdwa v10, v130, v11 dst_sel:DWORD dst_unused:UNUSED_PAD src0_sel:WORD_1 src1_sel:DWORD
	v_fma_f16 v10, v130, v8, v10
	v_lshrrev_b32_e32 v7, 2, v7
	s_or_b64 vcc, s[0:1], vcc
	v_cvt_f32_f16_e32 v10, v10
	v_addc_co_u32_e32 v7, vcc, 0, v7, vcc
	v_cmp_gt_i32_e32 vcc, 31, v9
	v_cndmask_b32_e32 v7, v2, v7, vcc
	v_cmp_ne_u32_e32 vcc, 0, v5
	v_cndmask_b32_e64 v5, 0, 1, vcc
	v_cmp_eq_u32_e32 vcc, s10, v9
	v_cvt_f64_f32_e32 v[9:10], v10
	v_lshl_or_b32 v5, v5, 9, v2
	v_cndmask_b32_e32 v5, v7, v5, vcc
	v_lshrrev_b32_e32 v7, 16, v12
	v_mul_f64 v[9:10], v[9:10], s[4:5]
	v_and_or_b32 v5, v7, s11, v5
	v_and_b32_e32 v1, 0xffff, v1
	v_lshl_or_b32 v1, v5, 16, v1
	v_mov_b32_e32 v5, s9
	v_add_co_u32_e32 v3, vcc, s8, v3
	v_addc_co_u32_e32 v4, vcc, v4, v5, vcc
	global_store_dword v[3:4], v1, off
	v_and_or_b32 v1, v10, s6, v9
	v_cmp_ne_u32_e32 vcc, 0, v1
	v_cndmask_b32_e64 v1, 0, 1, vcc
	v_lshrrev_b32_e32 v5, 8, v10
	v_bfe_u32 v7, v10, 20, 11
	v_and_or_b32 v1, v5, s7, v1
	v_sub_u32_e32 v9, 0x3f1, v7
	v_or_b32_e32 v5, 0x1000, v1
	v_med3_i32 v9, v9, 0, 13
	v_lshrrev_b32_e32 v12, v9, v5
	v_lshlrev_b32_e32 v9, v9, v12
	v_mul_f16_sdwa v8, v130, v8 dst_sel:DWORD dst_unused:UNUSED_PAD src0_sel:WORD_1 src1_sel:DWORD
	v_cmp_ne_u32_e32 vcc, v9, v5
	v_fma_f16 v8, v130, v11, -v8
	v_cndmask_b32_e64 v5, 0, 1, vcc
	v_add_u32_e32 v9, 0xfffffc10, v7
	v_cvt_f32_f16_e32 v8, v8
	v_or_b32_e32 v5, v12, v5
	v_lshl_or_b32 v7, v9, 12, v1
	v_cmp_gt_i32_e32 vcc, 1, v9
	v_cndmask_b32_e32 v5, v7, v5, vcc
	v_and_b32_e32 v7, 7, v5
	v_cmp_lt_i32_e32 vcc, 5, v7
	v_cmp_eq_u32_e64 s[0:1], 3, v7
	v_cvt_f64_f32_e32 v[7:8], v8
	v_lshrrev_b32_e32 v5, 2, v5
	s_or_b64 vcc, s[0:1], vcc
	v_addc_co_u32_e32 v5, vcc, 0, v5, vcc
	v_mul_f64 v[7:8], v[7:8], s[4:5]
	v_cmp_gt_i32_e32 vcc, 31, v9
	v_cndmask_b32_e32 v5, v2, v5, vcc
	v_cmp_ne_u32_e32 vcc, 0, v1
	v_cndmask_b32_e64 v1, 0, 1, vcc
	v_lshl_or_b32 v1, v1, 9, v2
	v_cmp_eq_u32_e32 vcc, s10, v9
	v_cndmask_b32_e32 v1, v5, v1, vcc
	v_lshrrev_b32_e32 v5, 16, v10
	v_and_or_b32 v1, v5, s11, v1
	v_and_or_b32 v5, v8, s6, v7
	v_cmp_ne_u32_e32 vcc, 0, v5
	v_cndmask_b32_e64 v5, 0, 1, vcc
	v_lshrrev_b32_e32 v7, 8, v8
	v_bfe_u32 v9, v8, 20, 11
	v_and_or_b32 v5, v7, s7, v5
	v_sub_u32_e32 v10, 0x3f1, v9
	v_or_b32_e32 v7, 0x1000, v5
	v_med3_i32 v10, v10, 0, 13
	v_lshrrev_b32_e32 v11, v10, v7
	v_lshlrev_b32_e32 v10, v10, v11
	v_cmp_ne_u32_e32 vcc, v10, v7
	v_cndmask_b32_e64 v7, 0, 1, vcc
	v_or_b32_e32 v7, v11, v7
	v_add_u32_e32 v11, 0xfffffc10, v9
	v_lshl_or_b32 v9, v11, 12, v5
	v_cmp_gt_i32_e32 vcc, 1, v11
	v_cndmask_b32_e32 v7, v9, v7, vcc
	v_and_b32_e32 v9, 7, v7
	v_cmp_lt_i32_e32 vcc, 5, v9
	v_cmp_eq_u32_e64 s[0:1], 3, v9
	v_add_u32_e32 v9, 0x1600, v123
	ds_read2_b32 v[9:10], v9 offset0:104 offset1:167
	v_lshrrev_b32_e32 v7, 2, v7
	s_or_b64 vcc, s[0:1], vcc
	v_addc_co_u32_e32 v7, vcc, 0, v7, vcc
	s_waitcnt lgkmcnt(0)
	v_lshrrev_b32_e32 v13, 16, v9
	v_mul_f16_sdwa v12, v131, v13 dst_sel:DWORD dst_unused:UNUSED_PAD src0_sel:WORD_1 src1_sel:DWORD
	v_fma_f16 v12, v131, v9, v12
	v_cvt_f32_f16_e32 v12, v12
	v_cmp_gt_i32_e32 vcc, 31, v11
	v_cndmask_b32_e32 v7, v2, v7, vcc
	v_cmp_ne_u32_e32 vcc, 0, v5
	v_cndmask_b32_e64 v5, 0, 1, vcc
	v_cmp_eq_u32_e32 vcc, s10, v11
	v_cvt_f64_f32_e32 v[11:12], v12
	v_lshl_or_b32 v5, v5, 9, v2
	v_cndmask_b32_e32 v5, v7, v5, vcc
	v_lshrrev_b32_e32 v7, 16, v8
	v_and_or_b32 v5, v7, s11, v5
	v_mul_f64 v[7:8], v[11:12], s[4:5]
	v_and_b32_e32 v1, 0xffff, v1
	v_lshl_or_b32 v1, v5, 16, v1
	v_mov_b32_e32 v5, s2
	v_add_co_u32_e32 v3, vcc, s3, v3
	v_addc_co_u32_e32 v4, vcc, v4, v5, vcc
	global_store_dword v[3:4], v1, off
	v_and_or_b32 v1, v8, s6, v7
	v_cmp_ne_u32_e32 vcc, 0, v1
	v_cndmask_b32_e64 v1, 0, 1, vcc
	v_lshrrev_b32_e32 v5, 8, v8
	v_bfe_u32 v7, v8, 20, 11
	v_and_or_b32 v1, v5, s7, v1
	v_sub_u32_e32 v11, 0x3f1, v7
	v_or_b32_e32 v5, 0x1000, v1
	v_med3_i32 v11, v11, 0, 13
	v_lshrrev_b32_e32 v12, v11, v5
	v_lshlrev_b32_e32 v11, v11, v12
	v_mul_f16_sdwa v9, v131, v9 dst_sel:DWORD dst_unused:UNUSED_PAD src0_sel:WORD_1 src1_sel:DWORD
	v_cmp_ne_u32_e32 vcc, v11, v5
	v_fma_f16 v9, v131, v13, -v9
	v_cndmask_b32_e64 v5, 0, 1, vcc
	v_add_u32_e32 v7, 0xfffffc10, v7
	v_cvt_f32_f16_e32 v9, v9
	v_or_b32_e32 v5, v12, v5
	v_lshl_or_b32 v11, v7, 12, v1
	v_cmp_gt_i32_e32 vcc, 1, v7
	v_cndmask_b32_e32 v5, v11, v5, vcc
	v_and_b32_e32 v11, 7, v5
	v_cmp_lt_i32_e32 vcc, 5, v11
	v_cmp_eq_u32_e64 s[0:1], 3, v11
	v_cvt_f64_f32_e32 v[11:12], v9
	v_lshrrev_b32_e32 v5, 2, v5
	s_or_b64 vcc, s[0:1], vcc
	v_addc_co_u32_e32 v5, vcc, 0, v5, vcc
	v_mul_f64 v[11:12], v[11:12], s[4:5]
	v_cmp_gt_i32_e32 vcc, 31, v7
	v_cndmask_b32_e32 v5, v2, v5, vcc
	v_cmp_ne_u32_e32 vcc, 0, v1
	v_cndmask_b32_e64 v1, 0, 1, vcc
	v_lshl_or_b32 v1, v1, 9, v2
	v_cmp_eq_u32_e32 vcc, s10, v7
	v_cndmask_b32_e32 v1, v5, v1, vcc
	v_lshrrev_b32_e32 v5, 16, v8
	v_and_or_b32 v1, v5, s11, v1
	v_and_or_b32 v5, v12, s6, v11
	v_cmp_ne_u32_e32 vcc, 0, v5
	v_cndmask_b32_e64 v5, 0, 1, vcc
	v_lshrrev_b32_e32 v7, 8, v12
	v_bfe_u32 v8, v12, 20, 11
	v_and_or_b32 v5, v7, s7, v5
	v_sub_u32_e32 v9, 0x3f1, v8
	v_or_b32_e32 v7, 0x1000, v5
	v_med3_i32 v9, v9, 0, 13
	v_lshrrev_b32_e32 v11, v9, v7
	v_lshlrev_b32_e32 v9, v9, v11
	v_cmp_ne_u32_e32 vcc, v9, v7
	v_cndmask_b32_e64 v7, 0, 1, vcc
	v_add_u32_e32 v8, 0xfffffc10, v8
	v_or_b32_e32 v7, v11, v7
	v_lshl_or_b32 v9, v8, 12, v5
	v_cmp_gt_i32_e32 vcc, 1, v8
	v_cndmask_b32_e32 v7, v9, v7, vcc
	v_and_b32_e32 v9, 7, v7
	v_cmp_lt_i32_e32 vcc, 5, v9
	v_cmp_eq_u32_e64 s[0:1], 3, v9
	v_lshrrev_b32_e32 v9, 16, v6
	v_lshrrev_b32_e32 v7, 2, v7
	s_or_b64 vcc, s[0:1], vcc
	v_mul_f16_sdwa v11, v127, v9 dst_sel:DWORD dst_unused:UNUSED_PAD src0_sel:WORD_1 src1_sel:DWORD
	v_addc_co_u32_e32 v7, vcc, 0, v7, vcc
	v_fma_f16 v11, v127, v6, v11
	v_cmp_gt_i32_e32 vcc, 31, v8
	v_cvt_f32_f16_e32 v11, v11
	v_cndmask_b32_e32 v7, v2, v7, vcc
	v_cmp_ne_u32_e32 vcc, 0, v5
	v_cndmask_b32_e64 v5, 0, 1, vcc
	v_lshl_or_b32 v5, v5, 9, v2
	v_cmp_eq_u32_e32 vcc, s10, v8
	v_cndmask_b32_e32 v5, v7, v5, vcc
	v_cvt_f64_f32_e32 v[7:8], v11
	v_lshrrev_b32_e32 v11, 16, v12
	v_and_or_b32 v5, v11, s11, v5
	v_and_b32_e32 v1, 0xffff, v1
	v_mul_f64 v[7:8], v[7:8], s[4:5]
	v_lshl_or_b32 v1, v5, 16, v1
	v_mov_b32_e32 v5, s2
	v_add_co_u32_e32 v3, vcc, s3, v3
	v_addc_co_u32_e32 v4, vcc, v4, v5, vcc
	global_store_dword v[3:4], v1, off
	v_and_or_b32 v1, v8, s6, v7
	v_cmp_ne_u32_e32 vcc, 0, v1
	v_cndmask_b32_e64 v1, 0, 1, vcc
	v_lshrrev_b32_e32 v5, 8, v8
	v_bfe_u32 v7, v8, 20, 11
	v_and_or_b32 v1, v5, s7, v1
	v_sub_u32_e32 v11, 0x3f1, v7
	v_or_b32_e32 v5, 0x1000, v1
	v_med3_i32 v11, v11, 0, 13
	v_lshrrev_b32_e32 v12, v11, v5
	v_mul_f16_sdwa v6, v127, v6 dst_sel:DWORD dst_unused:UNUSED_PAD src0_sel:WORD_1 src1_sel:DWORD
	v_lshlrev_b32_e32 v11, v11, v12
	v_fma_f16 v6, v127, v9, -v6
	v_cmp_ne_u32_e32 vcc, v11, v5
	v_cvt_f32_f16_e32 v6, v6
	v_cndmask_b32_e64 v5, 0, 1, vcc
	v_add_u32_e32 v7, 0xfffffc10, v7
	v_or_b32_e32 v5, v12, v5
	v_lshl_or_b32 v11, v7, 12, v1
	v_cmp_gt_i32_e32 vcc, 1, v7
	v_cndmask_b32_e32 v5, v11, v5, vcc
	v_and_b32_e32 v11, 7, v5
	v_lshrrev_b32_e32 v9, 2, v5
	v_cvt_f64_f32_e32 v[5:6], v6
	v_cmp_lt_i32_e32 vcc, 5, v11
	v_cmp_eq_u32_e64 s[0:1], 3, v11
	s_or_b64 vcc, s[0:1], vcc
	v_mul_f64 v[5:6], v[5:6], s[4:5]
	v_addc_co_u32_e32 v9, vcc, 0, v9, vcc
	v_cmp_gt_i32_e32 vcc, 31, v7
	v_cndmask_b32_e32 v9, v2, v9, vcc
	v_cmp_ne_u32_e32 vcc, 0, v1
	v_cndmask_b32_e64 v1, 0, 1, vcc
	v_lshl_or_b32 v1, v1, 9, v2
	v_cmp_eq_u32_e32 vcc, s10, v7
	v_and_or_b32 v5, v6, s6, v5
	v_cndmask_b32_e32 v1, v9, v1, vcc
	v_lshrrev_b32_e32 v7, 16, v8
	v_cmp_ne_u32_e32 vcc, 0, v5
	v_and_or_b32 v1, v7, s11, v1
	v_cndmask_b32_e64 v5, 0, 1, vcc
	v_lshrrev_b32_e32 v7, 8, v6
	v_bfe_u32 v8, v6, 20, 11
	v_and_or_b32 v5, v7, s7, v5
	v_sub_u32_e32 v9, 0x3f1, v8
	v_or_b32_e32 v7, 0x1000, v5
	v_med3_i32 v9, v9, 0, 13
	v_lshrrev_b32_e32 v11, v9, v7
	v_lshlrev_b32_e32 v9, v9, v11
	v_cmp_ne_u32_e32 vcc, v9, v7
	v_cndmask_b32_e64 v7, 0, 1, vcc
	v_add_u32_e32 v9, 0xfffffc10, v8
	v_or_b32_e32 v7, v11, v7
	v_lshl_or_b32 v8, v9, 12, v5
	v_cmp_gt_i32_e32 vcc, 1, v9
	v_cndmask_b32_e32 v7, v8, v7, vcc
	v_and_b32_e32 v8, 7, v7
	v_cmp_lt_i32_e32 vcc, 5, v8
	v_cmp_eq_u32_e64 s[0:1], 3, v8
	v_lshrrev_b32_e32 v7, 2, v7
	s_or_b64 vcc, s[0:1], vcc
	v_addc_co_u32_e32 v11, vcc, 0, v7, vcc
	v_add_u32_e32 v7, 0xe00, v123
	ds_read2_b32 v[7:8], v7 offset0:112 offset1:175
	v_cmp_gt_i32_e32 vcc, 31, v9
	v_cndmask_b32_e32 v11, v2, v11, vcc
	v_cmp_ne_u32_e32 vcc, 0, v5
	v_cndmask_b32_e64 v5, 0, 1, vcc
	s_waitcnt lgkmcnt(0)
	v_lshrrev_b32_e32 v13, 16, v7
	v_mul_f16_sdwa v12, v129, v13 dst_sel:DWORD dst_unused:UNUSED_PAD src0_sel:WORD_1 src1_sel:DWORD
	v_fma_f16 v12, v129, v7, v12
	v_cvt_f32_f16_e32 v12, v12
	v_lshl_or_b32 v5, v5, 9, v2
	v_cmp_eq_u32_e32 vcc, s10, v9
	v_cndmask_b32_e32 v5, v11, v5, vcc
	v_cvt_f64_f32_e32 v[11:12], v12
	v_lshrrev_b32_e32 v6, 16, v6
	v_and_or_b32 v9, v6, s11, v5
	v_and_b32_e32 v1, 0xffff, v1
	v_mul_f64 v[5:6], v[11:12], s[4:5]
	v_lshl_or_b32 v1, v9, 16, v1
	v_mov_b32_e32 v9, s9
	v_add_co_u32_e32 v3, vcc, s8, v3
	v_addc_co_u32_e32 v4, vcc, v4, v9, vcc
	global_store_dword v[3:4], v1, off
	v_and_or_b32 v1, v6, s6, v5
	v_cmp_ne_u32_e32 vcc, 0, v1
	v_cndmask_b32_e64 v1, 0, 1, vcc
	v_lshrrev_b32_e32 v5, 8, v6
	v_bfe_u32 v9, v6, 20, 11
	v_and_or_b32 v1, v5, s7, v1
	v_sub_u32_e32 v11, 0x3f1, v9
	v_or_b32_e32 v5, 0x1000, v1
	v_med3_i32 v11, v11, 0, 13
	v_lshrrev_b32_e32 v12, v11, v5
	v_lshlrev_b32_e32 v11, v11, v12
	v_mul_f16_sdwa v7, v129, v7 dst_sel:DWORD dst_unused:UNUSED_PAD src0_sel:WORD_1 src1_sel:DWORD
	v_cmp_ne_u32_e32 vcc, v11, v5
	v_fma_f16 v7, v129, v13, -v7
	v_cndmask_b32_e64 v5, 0, 1, vcc
	v_add_u32_e32 v9, 0xfffffc10, v9
	v_cvt_f32_f16_e32 v7, v7
	v_or_b32_e32 v5, v12, v5
	v_lshl_or_b32 v11, v9, 12, v1
	v_cmp_gt_i32_e32 vcc, 1, v9
	v_cndmask_b32_e32 v5, v11, v5, vcc
	v_and_b32_e32 v11, 7, v5
	v_cmp_lt_i32_e32 vcc, 5, v11
	v_cmp_eq_u32_e64 s[0:1], 3, v11
	v_cvt_f64_f32_e32 v[11:12], v7
	v_lshrrev_b32_e32 v5, 2, v5
	s_or_b64 vcc, s[0:1], vcc
	v_addc_co_u32_e32 v5, vcc, 0, v5, vcc
	v_mul_f64 v[11:12], v[11:12], s[4:5]
	v_cmp_gt_i32_e32 vcc, 31, v9
	v_cndmask_b32_e32 v5, v2, v5, vcc
	v_cmp_ne_u32_e32 vcc, 0, v1
	v_cndmask_b32_e64 v1, 0, 1, vcc
	v_lshl_or_b32 v1, v1, 9, v2
	v_cmp_eq_u32_e32 vcc, s10, v9
	v_cndmask_b32_e32 v1, v5, v1, vcc
	v_lshrrev_b32_e32 v5, 16, v6
	v_and_or_b32 v1, v5, s11, v1
	v_and_or_b32 v5, v12, s6, v11
	v_cmp_ne_u32_e32 vcc, 0, v5
	v_cndmask_b32_e64 v5, 0, 1, vcc
	v_lshrrev_b32_e32 v6, 8, v12
	v_bfe_u32 v7, v12, 20, 11
	v_and_or_b32 v5, v6, s7, v5
	v_sub_u32_e32 v9, 0x3f1, v7
	v_or_b32_e32 v6, 0x1000, v5
	v_med3_i32 v9, v9, 0, 13
	v_lshrrev_b32_e32 v11, v9, v6
	v_lshlrev_b32_e32 v9, v9, v11
	v_cmp_ne_u32_e32 vcc, v9, v6
	v_cndmask_b32_e64 v6, 0, 1, vcc
	v_add_u32_e32 v7, 0xfffffc10, v7
	v_or_b32_e32 v6, v11, v6
	v_lshl_or_b32 v9, v7, 12, v5
	v_cmp_gt_i32_e32 vcc, 1, v7
	v_cndmask_b32_e32 v6, v9, v6, vcc
	v_and_b32_e32 v9, 7, v6
	v_cmp_lt_i32_e32 vcc, 5, v9
	v_cmp_eq_u32_e64 s[0:1], 3, v9
	v_lshrrev_b32_e32 v9, 16, v10
	v_lshrrev_b32_e32 v6, 2, v6
	s_or_b64 vcc, s[0:1], vcc
	v_mul_f16_sdwa v11, v128, v9 dst_sel:DWORD dst_unused:UNUSED_PAD src0_sel:WORD_1 src1_sel:DWORD
	v_addc_co_u32_e32 v6, vcc, 0, v6, vcc
	v_fma_f16 v11, v128, v10, v11
	v_cmp_gt_i32_e32 vcc, 31, v7
	v_cvt_f32_f16_e32 v11, v11
	v_cndmask_b32_e32 v6, v2, v6, vcc
	v_cmp_ne_u32_e32 vcc, 0, v5
	v_cndmask_b32_e64 v5, 0, 1, vcc
	v_lshl_or_b32 v5, v5, 9, v2
	v_cmp_eq_u32_e32 vcc, s10, v7
	v_cndmask_b32_e32 v7, v6, v5, vcc
	v_cvt_f64_f32_e32 v[5:6], v11
	v_lshrrev_b32_e32 v11, 16, v12
	v_and_or_b32 v7, v11, s11, v7
	v_and_b32_e32 v1, 0xffff, v1
	v_mul_f64 v[5:6], v[5:6], s[4:5]
	v_lshl_or_b32 v1, v7, 16, v1
	v_mov_b32_e32 v7, s2
	v_add_co_u32_e32 v3, vcc, s3, v3
	v_addc_co_u32_e32 v4, vcc, v4, v7, vcc
	global_store_dword v[3:4], v1, off
	v_and_or_b32 v1, v6, s6, v5
	v_cmp_ne_u32_e32 vcc, 0, v1
	v_cndmask_b32_e64 v1, 0, 1, vcc
	v_lshrrev_b32_e32 v5, 8, v6
	v_bfe_u32 v7, v6, 20, 11
	v_mul_f16_sdwa v10, v128, v10 dst_sel:DWORD dst_unused:UNUSED_PAD src0_sel:WORD_1 src1_sel:DWORD
	v_and_or_b32 v1, v5, s7, v1
	v_sub_u32_e32 v11, 0x3f1, v7
	v_fma_f16 v9, v128, v9, -v10
	v_or_b32_e32 v5, 0x1000, v1
	v_med3_i32 v11, v11, 0, 13
	v_cvt_f32_f16_e32 v9, v9
	v_lshrrev_b32_e32 v12, v11, v5
	v_lshlrev_b32_e32 v11, v11, v12
	v_cmp_ne_u32_e32 vcc, v11, v5
	v_cndmask_b32_e64 v5, 0, 1, vcc
	v_add_u32_e32 v7, 0xfffffc10, v7
	v_cvt_f64_f32_e32 v[9:10], v9
	v_or_b32_e32 v5, v12, v5
	v_lshl_or_b32 v11, v7, 12, v1
	v_cmp_gt_i32_e32 vcc, 1, v7
	v_cndmask_b32_e32 v5, v11, v5, vcc
	v_and_b32_e32 v11, 7, v5
	v_cmp_lt_i32_e32 vcc, 5, v11
	v_cmp_eq_u32_e64 s[0:1], 3, v11
	v_mul_f64 v[9:10], v[9:10], s[4:5]
	v_lshrrev_b32_e32 v5, 2, v5
	s_or_b64 vcc, s[0:1], vcc
	v_addc_co_u32_e32 v5, vcc, 0, v5, vcc
	v_cmp_gt_i32_e32 vcc, 31, v7
	v_cndmask_b32_e32 v5, v2, v5, vcc
	v_cmp_ne_u32_e32 vcc, 0, v1
	v_cndmask_b32_e64 v1, 0, 1, vcc
	v_lshl_or_b32 v1, v1, 9, v2
	v_cmp_eq_u32_e32 vcc, s10, v7
	v_cndmask_b32_e32 v1, v5, v1, vcc
	v_lshrrev_b32_e32 v5, 16, v6
	v_and_or_b32 v1, v5, s11, v1
	v_and_or_b32 v5, v10, s6, v9
	v_cmp_ne_u32_e32 vcc, 0, v5
	v_cndmask_b32_e64 v5, 0, 1, vcc
	v_lshrrev_b32_e32 v6, 8, v10
	v_bfe_u32 v7, v10, 20, 11
	v_and_or_b32 v5, v6, s7, v5
	v_sub_u32_e32 v9, 0x3f1, v7
	v_or_b32_e32 v6, 0x1000, v5
	v_med3_i32 v9, v9, 0, 13
	v_lshrrev_b32_e32 v11, v9, v6
	v_lshlrev_b32_e32 v9, v9, v11
	v_cmp_ne_u32_e32 vcc, v9, v6
	v_cndmask_b32_e64 v6, 0, 1, vcc
	v_add_u32_e32 v7, 0xfffffc10, v7
	v_or_b32_e32 v6, v11, v6
	v_lshl_or_b32 v9, v7, 12, v5
	v_cmp_gt_i32_e32 vcc, 1, v7
	v_cndmask_b32_e32 v6, v9, v6, vcc
	v_and_b32_e32 v9, 7, v6
	v_cmp_lt_i32_e32 vcc, 5, v9
	v_cmp_eq_u32_e64 s[0:1], 3, v9
	v_lshrrev_b32_e32 v9, 16, v0
	v_lshrrev_b32_e32 v6, 2, v6
	s_or_b64 vcc, s[0:1], vcc
	v_mul_f16_sdwa v11, v125, v9 dst_sel:DWORD dst_unused:UNUSED_PAD src0_sel:WORD_1 src1_sel:DWORD
	v_addc_co_u32_e32 v6, vcc, 0, v6, vcc
	v_fma_f16 v11, v125, v0, v11
	v_cmp_gt_i32_e32 vcc, 31, v7
	v_cvt_f32_f16_e32 v11, v11
	v_cndmask_b32_e32 v6, v2, v6, vcc
	v_cmp_ne_u32_e32 vcc, 0, v5
	v_cndmask_b32_e64 v5, 0, 1, vcc
	v_lshl_or_b32 v5, v5, 9, v2
	v_cmp_eq_u32_e32 vcc, s10, v7
	v_cndmask_b32_e32 v7, v6, v5, vcc
	v_cvt_f64_f32_e32 v[5:6], v11
	v_lshrrev_b32_e32 v10, 16, v10
	v_and_or_b32 v7, v10, s11, v7
	v_and_b32_e32 v1, 0xffff, v1
	v_mul_f64 v[5:6], v[5:6], s[4:5]
	v_lshl_or_b32 v1, v7, 16, v1
	v_mov_b32_e32 v7, s2
	v_add_co_u32_e32 v3, vcc, s3, v3
	v_addc_co_u32_e32 v4, vcc, v4, v7, vcc
	global_store_dword v[3:4], v1, off
	v_and_or_b32 v1, v6, s6, v5
	v_cmp_ne_u32_e32 vcc, 0, v1
	v_cndmask_b32_e64 v1, 0, 1, vcc
	v_lshrrev_b32_e32 v5, 8, v6
	v_bfe_u32 v7, v6, 20, 11
	v_and_or_b32 v5, v5, s7, v1
	v_sub_u32_e32 v10, 0x3f1, v7
	v_or_b32_e32 v1, 0x1000, v5
	v_med3_i32 v10, v10, 0, 13
	v_lshrrev_b32_e32 v11, v10, v1
	v_mul_f16_sdwa v0, v125, v0 dst_sel:DWORD dst_unused:UNUSED_PAD src0_sel:WORD_1 src1_sel:DWORD
	v_lshlrev_b32_e32 v10, v10, v11
	v_fma_f16 v0, v125, v9, -v0
	v_cmp_ne_u32_e32 vcc, v10, v1
	v_cvt_f32_f16_e32 v0, v0
	v_cndmask_b32_e64 v1, 0, 1, vcc
	v_add_u32_e32 v7, 0xfffffc10, v7
	v_or_b32_e32 v1, v11, v1
	v_lshl_or_b32 v10, v7, 12, v5
	v_cmp_gt_i32_e32 vcc, 1, v7
	v_cndmask_b32_e32 v1, v10, v1, vcc
	v_and_b32_e32 v10, 7, v1
	v_lshrrev_b32_e32 v9, 2, v1
	v_cvt_f64_f32_e32 v[0:1], v0
	v_cmp_lt_i32_e32 vcc, 5, v10
	v_cmp_eq_u32_e64 s[0:1], 3, v10
	s_or_b64 vcc, s[0:1], vcc
	v_mul_f64 v[0:1], v[0:1], s[4:5]
	v_addc_co_u32_e32 v9, vcc, 0, v9, vcc
	v_cmp_gt_i32_e32 vcc, 31, v7
	v_cndmask_b32_e32 v9, v2, v9, vcc
	v_cmp_ne_u32_e32 vcc, 0, v5
	v_cndmask_b32_e64 v5, 0, 1, vcc
	v_lshl_or_b32 v5, v5, 9, v2
	v_cmp_eq_u32_e32 vcc, s10, v7
	v_and_or_b32 v0, v1, s6, v0
	v_cndmask_b32_e32 v5, v9, v5, vcc
	v_lshrrev_b32_e32 v6, 16, v6
	v_cmp_ne_u32_e32 vcc, 0, v0
	v_and_or_b32 v7, v6, s11, v5
	v_cndmask_b32_e64 v0, 0, 1, vcc
	v_lshrrev_b32_e32 v5, 8, v1
	v_bfe_u32 v6, v1, 20, 11
	v_and_or_b32 v0, v5, s7, v0
	v_sub_u32_e32 v9, 0x3f1, v6
	v_or_b32_e32 v5, 0x1000, v0
	v_med3_i32 v9, v9, 0, 13
	v_lshrrev_b32_e32 v10, v9, v5
	v_lshlrev_b32_e32 v9, v9, v10
	v_cmp_ne_u32_e32 vcc, v9, v5
	v_cndmask_b32_e64 v5, 0, 1, vcc
	v_add_u32_e32 v6, 0xfffffc10, v6
	v_or_b32_e32 v5, v10, v5
	v_lshl_or_b32 v9, v6, 12, v0
	v_cmp_gt_i32_e32 vcc, 1, v6
	v_cndmask_b32_e32 v5, v9, v5, vcc
	v_and_b32_e32 v9, 7, v5
	v_cmp_lt_i32_e32 vcc, 5, v9
	v_cmp_eq_u32_e64 s[0:1], 3, v9
	v_lshrrev_b32_e32 v9, 16, v8
	v_lshrrev_b32_e32 v5, 2, v5
	s_or_b64 vcc, s[0:1], vcc
	v_mul_f16_sdwa v10, v124, v9 dst_sel:DWORD dst_unused:UNUSED_PAD src0_sel:WORD_1 src1_sel:DWORD
	v_addc_co_u32_e32 v5, vcc, 0, v5, vcc
	v_fma_f16 v10, v124, v8, v10
	v_cmp_gt_i32_e32 vcc, 31, v6
	v_cvt_f32_f16_e32 v10, v10
	v_cndmask_b32_e32 v5, v2, v5, vcc
	v_cmp_ne_u32_e32 vcc, 0, v0
	v_cndmask_b32_e64 v0, 0, 1, vcc
	v_lshl_or_b32 v0, v0, 9, v2
	v_cmp_eq_u32_e32 vcc, s10, v6
	v_cndmask_b32_e32 v0, v5, v0, vcc
	v_cvt_f64_f32_e32 v[5:6], v10
	v_lshrrev_b32_e32 v1, 16, v1
	v_and_or_b32 v10, v1, s11, v0
	v_add_co_u32_e32 v3, vcc, s8, v3
	v_mul_f64 v[0:1], v[5:6], s[4:5]
	v_mov_b32_e32 v6, s9
	v_and_b32_e32 v7, 0xffff, v7
	v_addc_co_u32_e32 v4, vcc, v4, v6, vcc
	v_lshl_or_b32 v5, v10, 16, v7
	global_store_dword v[3:4], v5, off
	v_mul_f16_sdwa v8, v124, v8 dst_sel:DWORD dst_unused:UNUSED_PAD src0_sel:WORD_1 src1_sel:DWORD
	v_and_or_b32 v0, v1, s6, v0
	v_cmp_ne_u32_e32 vcc, 0, v0
	v_cndmask_b32_e64 v0, 0, 1, vcc
	v_lshrrev_b32_e32 v5, 8, v1
	v_bfe_u32 v6, v1, 20, 11
	v_and_or_b32 v0, v5, s7, v0
	v_sub_u32_e32 v7, 0x3f1, v6
	v_or_b32_e32 v5, 0x1000, v0
	v_med3_i32 v7, v7, 0, 13
	v_lshrrev_b32_e32 v10, v7, v5
	v_lshlrev_b32_e32 v7, v7, v10
	v_cmp_ne_u32_e32 vcc, v7, v5
	v_fma_f16 v8, v124, v9, -v8
	v_cndmask_b32_e64 v5, 0, 1, vcc
	v_add_u32_e32 v7, 0xfffffc10, v6
	v_cvt_f32_f16_e32 v8, v8
	v_or_b32_e32 v5, v10, v5
	v_lshl_or_b32 v6, v7, 12, v0
	v_cmp_gt_i32_e32 vcc, 1, v7
	v_cndmask_b32_e32 v5, v6, v5, vcc
	v_and_b32_e32 v6, 7, v5
	v_cmp_lt_i32_e32 vcc, 5, v6
	v_cmp_eq_u32_e64 s[0:1], 3, v6
	v_lshrrev_b32_e32 v9, 2, v5
	v_cvt_f64_f32_e32 v[5:6], v8
	s_or_b64 vcc, s[0:1], vcc
	v_addc_co_u32_e32 v8, vcc, 0, v9, vcc
	v_mul_f64 v[5:6], v[5:6], s[4:5]
	v_cmp_gt_i32_e32 vcc, 31, v7
	v_cndmask_b32_e32 v8, v2, v8, vcc
	v_cmp_ne_u32_e32 vcc, 0, v0
	v_cndmask_b32_e64 v0, 0, 1, vcc
	v_lshl_or_b32 v0, v0, 9, v2
	v_cmp_eq_u32_e32 vcc, s10, v7
	v_cndmask_b32_e32 v0, v8, v0, vcc
	v_lshrrev_b32_e32 v1, 16, v1
	v_and_or_b32 v7, v1, s11, v0
	v_and_or_b32 v0, v6, s6, v5
	v_cmp_ne_u32_e32 vcc, 0, v0
	v_cndmask_b32_e64 v0, 0, 1, vcc
	v_lshrrev_b32_e32 v1, 8, v6
	v_bfe_u32 v5, v6, 20, 11
	v_and_or_b32 v0, v1, s7, v0
	v_sub_u32_e32 v8, 0x3f1, v5
	v_or_b32_e32 v1, 0x1000, v0
	v_med3_i32 v8, v8, 0, 13
	v_lshrrev_b32_e32 v9, v8, v1
	v_lshlrev_b32_e32 v8, v8, v9
	v_cmp_ne_u32_e32 vcc, v8, v1
	v_cndmask_b32_e64 v1, 0, 1, vcc
	v_add_u32_e32 v5, 0xfffffc10, v5
	v_or_b32_e32 v1, v9, v1
	v_lshl_or_b32 v8, v5, 12, v0
	v_cmp_gt_i32_e32 vcc, 1, v5
	v_cndmask_b32_e32 v1, v8, v1, vcc
	v_and_b32_e32 v8, 7, v1
	v_cmp_lt_i32_e32 vcc, 5, v8
	v_cmp_eq_u32_e64 s[0:1], 3, v8
	ds_read_b32 v8, v123 offset:6552
	v_lshrrev_b32_e32 v1, 2, v1
	s_or_b64 vcc, s[0:1], vcc
	v_addc_co_u32_e32 v1, vcc, 0, v1, vcc
	s_waitcnt lgkmcnt(0)
	v_lshrrev_b32_e32 v9, 16, v8
	v_mul_f16_sdwa v10, v126, v9 dst_sel:DWORD dst_unused:UNUSED_PAD src0_sel:WORD_1 src1_sel:DWORD
	v_fma_f16 v10, v126, v8, v10
	v_cmp_gt_i32_e32 vcc, 31, v5
	v_cvt_f32_f16_e32 v10, v10
	v_cndmask_b32_e32 v1, v2, v1, vcc
	v_cmp_ne_u32_e32 vcc, 0, v0
	v_cndmask_b32_e64 v0, 0, 1, vcc
	v_lshl_or_b32 v0, v0, 9, v2
	v_cmp_eq_u32_e32 vcc, s10, v5
	v_cndmask_b32_e32 v5, v1, v0, vcc
	v_cvt_f64_f32_e32 v[0:1], v10
	v_lshrrev_b32_e32 v6, 16, v6
	v_and_or_b32 v5, v6, s11, v5
	v_and_b32_e32 v6, 0xffff, v7
	v_mul_f64 v[0:1], v[0:1], s[4:5]
	v_lshl_or_b32 v5, v5, 16, v6
	v_mov_b32_e32 v6, s2
	v_add_co_u32_e32 v3, vcc, s3, v3
	v_addc_co_u32_e32 v4, vcc, v4, v6, vcc
	global_store_dword v[3:4], v5, off
	v_and_or_b32 v0, v1, s6, v0
	v_cmp_ne_u32_e32 vcc, 0, v0
	v_cndmask_b32_e64 v0, 0, 1, vcc
	v_lshrrev_b32_e32 v5, 8, v1
	v_bfe_u32 v6, v1, 20, 11
	v_and_or_b32 v0, v5, s7, v0
	v_sub_u32_e32 v7, 0x3f1, v6
	v_or_b32_e32 v5, 0x1000, v0
	v_med3_i32 v7, v7, 0, 13
	v_lshrrev_b32_e32 v10, v7, v5
	v_lshlrev_b32_e32 v7, v7, v10
	v_mul_f16_sdwa v8, v126, v8 dst_sel:DWORD dst_unused:UNUSED_PAD src0_sel:WORD_1 src1_sel:DWORD
	v_cmp_ne_u32_e32 vcc, v7, v5
	v_fma_f16 v8, v126, v9, -v8
	v_cndmask_b32_e64 v5, 0, 1, vcc
	v_add_u32_e32 v7, 0xfffffc10, v6
	v_cvt_f32_f16_e32 v8, v8
	v_or_b32_e32 v5, v10, v5
	v_lshl_or_b32 v6, v7, 12, v0
	v_cmp_gt_i32_e32 vcc, 1, v7
	v_cndmask_b32_e32 v5, v6, v5, vcc
	v_and_b32_e32 v6, 7, v5
	v_cmp_lt_i32_e32 vcc, 5, v6
	v_cmp_eq_u32_e64 s[0:1], 3, v6
	v_lshrrev_b32_e32 v9, 2, v5
	v_cvt_f64_f32_e32 v[5:6], v8
	s_or_b64 vcc, s[0:1], vcc
	v_addc_co_u32_e32 v8, vcc, 0, v9, vcc
	v_mul_f64 v[5:6], v[5:6], s[4:5]
	v_cmp_gt_i32_e32 vcc, 31, v7
	v_cndmask_b32_e32 v8, v2, v8, vcc
	v_cmp_ne_u32_e32 vcc, 0, v0
	v_cndmask_b32_e64 v0, 0, 1, vcc
	v_lshl_or_b32 v0, v0, 9, v2
	v_cmp_eq_u32_e32 vcc, s10, v7
	v_cndmask_b32_e32 v0, v8, v0, vcc
	v_lshrrev_b32_e32 v1, 16, v1
	v_and_or_b32 v0, v1, s11, v0
	v_and_or_b32 v1, v6, s6, v5
	v_cmp_ne_u32_e32 vcc, 0, v1
	v_cndmask_b32_e64 v1, 0, 1, vcc
	v_lshrrev_b32_e32 v5, 8, v6
	v_bfe_u32 v7, v6, 20, 11
	v_and_or_b32 v1, v5, s7, v1
	v_sub_u32_e32 v8, 0x3f1, v7
	v_or_b32_e32 v5, 0x1000, v1
	v_med3_i32 v8, v8, 0, 13
	v_lshrrev_b32_e32 v9, v8, v5
	v_lshlrev_b32_e32 v8, v8, v9
	v_cmp_ne_u32_e32 vcc, v8, v5
	v_cndmask_b32_e64 v5, 0, 1, vcc
	v_add_u32_e32 v7, 0xfffffc10, v7
	v_or_b32_e32 v5, v9, v5
	v_lshl_or_b32 v8, v7, 12, v1
	v_cmp_gt_i32_e32 vcc, 1, v7
	v_cndmask_b32_e32 v5, v8, v5, vcc
	v_and_b32_e32 v8, 7, v5
	v_cmp_lt_i32_e32 vcc, 5, v8
	v_cmp_eq_u32_e64 s[0:1], 3, v8
	v_lshrrev_b32_e32 v5, 2, v5
	s_or_b64 vcc, s[0:1], vcc
	v_addc_co_u32_e32 v5, vcc, 0, v5, vcc
	v_cmp_gt_i32_e32 vcc, 31, v7
	v_cndmask_b32_e32 v5, v2, v5, vcc
	v_cmp_ne_u32_e32 vcc, 0, v1
	v_cndmask_b32_e64 v1, 0, 1, vcc
	v_lshl_or_b32 v1, v1, 9, v2
	v_cmp_eq_u32_e32 vcc, s10, v7
	v_cndmask_b32_e32 v1, v5, v1, vcc
	v_lshrrev_b32_e32 v2, 16, v6
	v_and_or_b32 v1, v2, s11, v1
	v_and_b32_e32 v0, 0xffff, v0
	v_lshl_or_b32 v2, v1, 16, v0
	v_mov_b32_e32 v1, s2
	v_add_co_u32_e32 v0, vcc, s3, v3
	v_addc_co_u32_e32 v1, vcc, v4, v1, vcc
	global_store_dword v[0:1], v2, off
.LBB0_10:
	s_endpgm
	.section	.rodata,"a",@progbits
	.p2align	6, 0x0
	.amdhsa_kernel bluestein_single_back_len1701_dim1_half_op_CI_CI
		.amdhsa_group_segment_fixed_size 6804
		.amdhsa_private_segment_fixed_size 0
		.amdhsa_kernarg_size 104
		.amdhsa_user_sgpr_count 6
		.amdhsa_user_sgpr_private_segment_buffer 1
		.amdhsa_user_sgpr_dispatch_ptr 0
		.amdhsa_user_sgpr_queue_ptr 0
		.amdhsa_user_sgpr_kernarg_segment_ptr 1
		.amdhsa_user_sgpr_dispatch_id 0
		.amdhsa_user_sgpr_flat_scratch_init 0
		.amdhsa_user_sgpr_private_segment_size 0
		.amdhsa_uses_dynamic_stack 0
		.amdhsa_system_sgpr_private_segment_wavefront_offset 0
		.amdhsa_system_sgpr_workgroup_id_x 1
		.amdhsa_system_sgpr_workgroup_id_y 0
		.amdhsa_system_sgpr_workgroup_id_z 0
		.amdhsa_system_sgpr_workgroup_info 0
		.amdhsa_system_vgpr_workitem_id 0
		.amdhsa_next_free_vgpr 249
		.amdhsa_next_free_sgpr 20
		.amdhsa_reserve_vcc 1
		.amdhsa_reserve_flat_scratch 0
		.amdhsa_float_round_mode_32 0
		.amdhsa_float_round_mode_16_64 0
		.amdhsa_float_denorm_mode_32 3
		.amdhsa_float_denorm_mode_16_64 3
		.amdhsa_dx10_clamp 1
		.amdhsa_ieee_mode 1
		.amdhsa_fp16_overflow 0
		.amdhsa_exception_fp_ieee_invalid_op 0
		.amdhsa_exception_fp_denorm_src 0
		.amdhsa_exception_fp_ieee_div_zero 0
		.amdhsa_exception_fp_ieee_overflow 0
		.amdhsa_exception_fp_ieee_underflow 0
		.amdhsa_exception_fp_ieee_inexact 0
		.amdhsa_exception_int_div_zero 0
	.end_amdhsa_kernel
	.text
.Lfunc_end0:
	.size	bluestein_single_back_len1701_dim1_half_op_CI_CI, .Lfunc_end0-bluestein_single_back_len1701_dim1_half_op_CI_CI
                                        ; -- End function
	.section	.AMDGPU.csdata,"",@progbits
; Kernel info:
; codeLenInByte = 44388
; NumSgprs: 24
; NumVgprs: 249
; ScratchSize: 0
; MemoryBound: 0
; FloatMode: 240
; IeeeMode: 1
; LDSByteSize: 6804 bytes/workgroup (compile time only)
; SGPRBlocks: 2
; VGPRBlocks: 62
; NumSGPRsForWavesPerEU: 24
; NumVGPRsForWavesPerEU: 249
; Occupancy: 1
; WaveLimiterHint : 1
; COMPUTE_PGM_RSRC2:SCRATCH_EN: 0
; COMPUTE_PGM_RSRC2:USER_SGPR: 6
; COMPUTE_PGM_RSRC2:TRAP_HANDLER: 0
; COMPUTE_PGM_RSRC2:TGID_X_EN: 1
; COMPUTE_PGM_RSRC2:TGID_Y_EN: 0
; COMPUTE_PGM_RSRC2:TGID_Z_EN: 0
; COMPUTE_PGM_RSRC2:TIDIG_COMP_CNT: 0
	.type	__hip_cuid_37c48880b2aa0ca9,@object ; @__hip_cuid_37c48880b2aa0ca9
	.section	.bss,"aw",@nobits
	.globl	__hip_cuid_37c48880b2aa0ca9
__hip_cuid_37c48880b2aa0ca9:
	.byte	0                               ; 0x0
	.size	__hip_cuid_37c48880b2aa0ca9, 1

	.ident	"AMD clang version 19.0.0git (https://github.com/RadeonOpenCompute/llvm-project roc-6.4.0 25133 c7fe45cf4b819c5991fe208aaa96edf142730f1d)"
	.section	".note.GNU-stack","",@progbits
	.addrsig
	.addrsig_sym __hip_cuid_37c48880b2aa0ca9
	.amdgpu_metadata
---
amdhsa.kernels:
  - .args:
      - .actual_access:  read_only
        .address_space:  global
        .offset:         0
        .size:           8
        .value_kind:     global_buffer
      - .actual_access:  read_only
        .address_space:  global
        .offset:         8
        .size:           8
        .value_kind:     global_buffer
      - .actual_access:  read_only
        .address_space:  global
        .offset:         16
        .size:           8
        .value_kind:     global_buffer
      - .actual_access:  read_only
        .address_space:  global
        .offset:         24
        .size:           8
        .value_kind:     global_buffer
      - .actual_access:  read_only
        .address_space:  global
        .offset:         32
        .size:           8
        .value_kind:     global_buffer
      - .offset:         40
        .size:           8
        .value_kind:     by_value
      - .address_space:  global
        .offset:         48
        .size:           8
        .value_kind:     global_buffer
      - .address_space:  global
        .offset:         56
        .size:           8
        .value_kind:     global_buffer
      - .address_space:  global
        .offset:         64
        .size:           8
        .value_kind:     global_buffer
      - .address_space:  global
        .offset:         72
        .size:           8
        .value_kind:     global_buffer
      - .offset:         80
        .size:           4
        .value_kind:     by_value
      - .address_space:  global
        .offset:         88
        .size:           8
        .value_kind:     global_buffer
      - .address_space:  global
        .offset:         96
        .size:           8
        .value_kind:     global_buffer
    .group_segment_fixed_size: 6804
    .kernarg_segment_align: 8
    .kernarg_segment_size: 104
    .language:       OpenCL C
    .language_version:
      - 2
      - 0
    .max_flat_workgroup_size: 63
    .name:           bluestein_single_back_len1701_dim1_half_op_CI_CI
    .private_segment_fixed_size: 0
    .sgpr_count:     24
    .sgpr_spill_count: 0
    .symbol:         bluestein_single_back_len1701_dim1_half_op_CI_CI.kd
    .uniform_work_group_size: 1
    .uses_dynamic_stack: false
    .vgpr_count:     249
    .vgpr_spill_count: 0
    .wavefront_size: 64
amdhsa.target:   amdgcn-amd-amdhsa--gfx906
amdhsa.version:
  - 1
  - 2
...

	.end_amdgpu_metadata
